;; amdgpu-corpus repo=ROCm/rocFFT kind=compiled arch=gfx1201 opt=O3
	.text
	.amdgcn_target "amdgcn-amd-amdhsa--gfx1201"
	.amdhsa_code_object_version 6
	.protected	bluestein_single_fwd_len1496_dim1_sp_op_CI_CI ; -- Begin function bluestein_single_fwd_len1496_dim1_sp_op_CI_CI
	.globl	bluestein_single_fwd_len1496_dim1_sp_op_CI_CI
	.p2align	8
	.type	bluestein_single_fwd_len1496_dim1_sp_op_CI_CI,@function
bluestein_single_fwd_len1496_dim1_sp_op_CI_CI: ; @bluestein_single_fwd_len1496_dim1_sp_op_CI_CI
; %bb.0:
	s_load_b128 s[4:7], s[0:1], 0x28
	v_mul_u32_u24_e32 v1, 0x15f, v0
	s_mov_b32 s2, exec_lo
	v_mov_b32_e32 v69, 0
	s_delay_alu instid0(VALU_DEP_2) | instskip(NEXT) | instid1(VALU_DEP_1)
	v_lshrrev_b32_e32 v1, 16, v1
	v_add_nc_u32_e32 v68, ttmp9, v1
	s_wait_kmcnt 0x0
	s_delay_alu instid0(VALU_DEP_1)
	v_cmpx_gt_u64_e64 s[4:5], v[68:69]
	s_cbranch_execz .LBB0_23
; %bb.1:
	v_mul_lo_u16 v1, 0xbb, v1
	s_clause 0x1
	s_load_b64 s[12:13], s[0:1], 0x0
	s_load_b64 s[14:15], s[0:1], 0x38
	s_delay_alu instid0(VALU_DEP_1) | instskip(NEXT) | instid1(VALU_DEP_1)
	v_sub_nc_u16 v0, v0, v1
	v_and_b32_e32 v87, 0xffff, v0
	v_cmp_gt_u16_e32 vcc_lo, 0x58, v0
	s_delay_alu instid0(VALU_DEP_2)
	v_lshlrev_b32_e32 v86, 3, v87
	v_or_b32_e32 v85, 0x580, v87
	s_and_saveexec_b32 s3, vcc_lo
	s_cbranch_execz .LBB0_3
; %bb.2:
	s_load_b64 s[4:5], s[0:1], 0x18
	v_add_nc_u32_e32 v74, 0x800, v86
	s_wait_kmcnt 0x0
	s_load_b128 s[8:11], s[4:5], 0x0
	s_clause 0x7
	global_load_b64 v[4:5], v86, s[12:13]
	global_load_b64 v[6:7], v86, s[12:13] offset:704
	global_load_b64 v[8:9], v86, s[12:13] offset:1408
	;; [unrolled: 1-line block ×7, first 2 shown]
	s_wait_kmcnt 0x0
	v_mad_co_u64_u32 v[0:1], null, s10, v68, 0
	v_mad_co_u64_u32 v[2:3], null, s8, v87, 0
	s_mul_u64 s[4:5], s[8:9], 0x2c0
	s_delay_alu instid0(VALU_DEP_1) | instskip(SKIP_1) | instid1(VALU_DEP_1)
	v_mad_co_u64_u32 v[20:21], null, s11, v68, v[1:2]
	v_mad_co_u64_u32 v[21:22], null, s8, v85, 0
	v_dual_mov_b32 v1, v20 :: v_dual_mov_b32 v20, v22
	s_delay_alu instid0(VALU_DEP_1)
	v_lshlrev_b64_e32 v[0:1], 3, v[0:1]
	s_wait_loadcnt 0x7
	v_mad_co_u64_u32 v[23:24], null, s9, v87, v[3:4]
	s_clause 0x6
	global_load_b64 v[24:25], v86, s[12:13] offset:5632
	global_load_b64 v[26:27], v86, s[12:13] offset:6336
	global_load_b64 v[28:29], v86, s[12:13] offset:7040
	global_load_b64 v[30:31], v86, s[12:13] offset:7744
	global_load_b64 v[32:33], v86, s[12:13] offset:8448
	global_load_b64 v[34:35], v86, s[12:13] offset:9152
	global_load_b64 v[36:37], v86, s[12:13] offset:11264
	v_mov_b32_e32 v3, v23
	v_mad_co_u64_u32 v[22:23], null, s9, v85, v[20:21]
	v_add_co_u32 v23, s2, s6, v0
	s_delay_alu instid0(VALU_DEP_3) | instskip(SKIP_1) | instid1(VALU_DEP_2)
	v_lshlrev_b64_e32 v[2:3], 3, v[2:3]
	v_add_co_ci_u32_e64 v38, s2, s7, v1, s2
	v_add_co_u32 v0, s2, v23, v2
	s_wait_alu 0xf1ff
	s_delay_alu instid0(VALU_DEP_2)
	v_add_co_ci_u32_e64 v1, s2, v38, v3, s2
	v_lshlrev_b64_e32 v[2:3], 3, v[21:22]
	s_wait_alu 0xfffe
	v_add_co_u32 v20, s2, v0, s4
	s_wait_alu 0xf1ff
	v_add_co_ci_u32_e64 v21, s2, s5, v1, s2
	global_load_b64 v[0:1], v[0:1], off
	v_add_co_u32 v2, s2, v23, v2
	s_wait_alu 0xf1ff
	v_add_co_ci_u32_e64 v3, s2, v38, v3, s2
	v_add_co_u32 v22, s2, v20, s4
	s_wait_alu 0xf1ff
	v_add_co_ci_u32_e64 v23, s2, s5, v21, s2
	global_load_b64 v[2:3], v[2:3], off
	v_add_co_u32 v38, s2, v22, s4
	s_wait_alu 0xf1ff
	v_add_co_ci_u32_e64 v39, s2, s5, v23, s2
	v_add_nc_u32_e32 v76, 0x1400, v86
	s_delay_alu instid0(VALU_DEP_3) | instskip(SKIP_1) | instid1(VALU_DEP_3)
	v_add_co_u32 v40, s2, v38, s4
	s_wait_alu 0xf1ff
	v_add_co_ci_u32_e64 v41, s2, s5, v39, s2
	s_clause 0x2
	global_load_b64 v[20:21], v[20:21], off
	global_load_b64 v[22:23], v[22:23], off
	global_load_b64 v[38:39], v[38:39], off
	v_add_co_u32 v42, s2, v40, s4
	s_wait_alu 0xf1ff
	v_add_co_ci_u32_e64 v43, s2, s5, v41, s2
	global_load_b64 v[40:41], v[40:41], off
	v_add_co_u32 v44, s2, v42, s4
	s_wait_alu 0xf1ff
	v_add_co_ci_u32_e64 v45, s2, s5, v43, s2
	global_load_b64 v[42:43], v[42:43], off
	;; [unrolled: 4-line block ×11, first 2 shown]
	s_clause 0x1
	global_load_b64 v[64:65], v86, s[12:13] offset:9856
	global_load_b64 v[66:67], v86, s[12:13] offset:10560
	global_load_b64 v[62:63], v[62:63], off
	v_add_nc_u32_e32 v78, 0x2000, v86
	v_add_nc_u32_e32 v73, 0x400, v86
	;; [unrolled: 1-line block ×4, first 2 shown]
	s_wait_loadcnt 0x12
	v_mul_f32_e32 v69, v1, v5
	v_mul_f32_e32 v5, v0, v5
	s_delay_alu instid0(VALU_DEP_2) | instskip(NEXT) | instid1(VALU_DEP_2)
	v_fmac_f32_e32 v69, v0, v4
	v_fma_f32 v70, v1, v4, -v5
	s_wait_loadcnt 0x10
	v_dual_mul_f32 v0, v21, v7 :: v_dual_mul_f32 v71, v3, v37
	v_mul_f32_e32 v37, v2, v37
	v_mul_f32_e32 v1, v20, v7
	s_wait_loadcnt 0xe
	v_mul_f32_e32 v4, v39, v11
	v_dual_fmac_f32 v0, v20, v6 :: v_dual_fmac_f32 v71, v2, v36
	v_fma_f32 v72, v3, v36, -v37
	v_mul_f32_e32 v2, v23, v9
	v_fma_f32 v1, v21, v6, -v1
	s_wait_loadcnt 0xd
	v_mul_f32_e32 v6, v41, v13
	v_mul_f32_e32 v3, v22, v9
	;; [unrolled: 1-line block ×3, first 2 shown]
	v_dual_fmac_f32 v2, v22, v8 :: v_dual_add_nc_u32 v79, 0x2400, v86
	s_wait_loadcnt 0xc
	v_dual_mul_f32 v9, v42, v15 :: v_dual_fmac_f32 v6, v40, v12
	v_fma_f32 v3, v23, v8, -v3
	v_dual_mul_f32 v8, v43, v15 :: v_dual_mul_f32 v7, v40, v13
	v_fmac_f32_e32 v4, v38, v10
	v_fma_f32 v5, v39, v10, -v5
	ds_store_2addr_b64 v86, v[69:70], v[0:1] offset1:88
	ds_store_2addr_b64 v73, v[2:3], v[4:5] offset0:48 offset1:136
	v_fmac_f32_e32 v8, v42, v14
	v_fma_f32 v7, v41, v12, -v7
	s_wait_loadcnt 0x9
	v_mul_f32_e32 v4, v49, v25
	v_fma_f32 v9, v43, v14, -v9
	v_dual_mul_f32 v1, v44, v17 :: v_dual_mul_f32 v2, v47, v19
	v_dual_mul_f32 v0, v45, v17 :: v_dual_mul_f32 v3, v46, v19
	s_delay_alu instid0(VALU_DEP_4)
	v_fmac_f32_e32 v4, v48, v24
	ds_store_2addr_b64 v74, v[6:7], v[8:9] offset0:96 offset1:184
	s_wait_loadcnt 0x7
	v_dual_mul_f32 v7, v50, v27 :: v_dual_mul_f32 v8, v53, v29
	v_dual_mul_f32 v6, v51, v27 :: v_dual_mul_f32 v9, v52, v29
	v_dual_fmac_f32 v2, v46, v18 :: v_dual_mul_f32 v5, v48, v25
	s_wait_loadcnt 0x6
	s_delay_alu instid0(VALU_DEP_3)
	v_dual_fmac_f32 v8, v52, v28 :: v_dual_mul_f32 v11, v54, v31
	v_mul_f32_e32 v10, v55, v31
	v_fmac_f32_e32 v6, v50, v26
	v_fmac_f32_e32 v0, v44, v16
	s_wait_loadcnt 0x5
	v_mul_f32_e32 v13, v56, v33
	v_mul_f32_e32 v12, v57, v33
	v_fma_f32 v1, v45, v16, -v1
	v_fma_f32 v3, v47, v18, -v3
	;; [unrolled: 1-line block ×3, first 2 shown]
	s_wait_loadcnt 0x4
	v_mul_f32_e32 v15, v58, v35
	v_mul_f32_e32 v14, v59, v35
	v_fmac_f32_e32 v12, v56, v32
	s_wait_loadcnt 0x2
	v_mul_f32_e32 v16, v61, v65
	v_mul_f32_e32 v17, v60, v65
	s_wait_loadcnt 0x0
	v_mul_f32_e32 v19, v62, v67
	v_mul_f32_e32 v18, v63, v67
	v_fma_f32 v7, v51, v26, -v7
	v_fma_f32 v9, v53, v28, -v9
	v_fmac_f32_e32 v10, v54, v30
	v_fma_f32 v11, v55, v30, -v11
	v_fma_f32 v13, v57, v32, -v13
	v_fmac_f32_e32 v14, v58, v34
	v_fma_f32 v15, v59, v34, -v15
	v_fmac_f32_e32 v16, v60, v64
	;; [unrolled: 2-line block ×3, first 2 shown]
	v_fma_f32 v19, v63, v66, -v19
	ds_store_2addr_b64 v75, v[0:1], v[2:3] offset0:16 offset1:104
	ds_store_2addr_b64 v76, v[4:5], v[6:7] offset0:64 offset1:152
	;; [unrolled: 1-line block ×5, first 2 shown]
	ds_store_b64 v86, v[71:72] offset:11264
.LBB0_3:
	s_or_b32 exec_lo, exec_lo, s3
	s_load_b64 s[2:3], s[0:1], 0x20
	v_mov_b32_e32 v12, 0
	v_mov_b32_e32 v13, 0
	global_wb scope:SCOPE_SE
	s_wait_dscnt 0x0
	s_wait_kmcnt 0x0
	s_barrier_signal -1
	s_barrier_wait -1
	global_inv scope:SCOPE_SE
                                        ; implicit-def: $vgpr30
                                        ; implicit-def: $vgpr24
                                        ; implicit-def: $vgpr20
                                        ; implicit-def: $vgpr16
                                        ; implicit-def: $vgpr8
                                        ; implicit-def: $vgpr42
                                        ; implicit-def: $vgpr34
                                        ; implicit-def: $vgpr38
	s_and_saveexec_b32 s4, vcc_lo
	s_cbranch_execz .LBB0_5
; %bb.4:
	v_add_nc_u32_e32 v0, 0x400, v86
	v_add_nc_u32_e32 v1, 0x800, v86
	;; [unrolled: 1-line block ×3, first 2 shown]
	ds_load_2addr_b64 v[12:15], v86 offset1:88
	v_add_nc_u32_e32 v3, 0x2000, v86
	ds_load_2addr_b64 v[36:39], v0 offset0:48 offset1:136
	ds_load_2addr_b64 v[32:35], v1 offset0:96 offset1:184
	v_add_nc_u32_e32 v0, 0x1400, v86
	v_add_nc_u32_e32 v1, 0x1800, v86
	;; [unrolled: 1-line block ×3, first 2 shown]
	ds_load_2addr_b64 v[40:43], v2 offset0:16 offset1:104
	ds_load_2addr_b64 v[28:31], v0 offset0:64 offset1:152
	;; [unrolled: 1-line block ×5, first 2 shown]
	ds_load_b64 v[8:9], v86 offset:11264
.LBB0_5:
	s_wait_alu 0xfffe
	s_or_b32 exec_lo, exec_lo, s4
	s_wait_dscnt 0x0
	v_dual_sub_f32 v11, v15, v9 :: v_dual_sub_f32 v44, v14, v8
	v_dual_add_f32 v79, v8, v14 :: v_dual_add_f32 v80, v9, v15
	v_dual_add_f32 v71, v18, v36 :: v_dual_sub_f32 v46, v37, v19
	s_delay_alu instid0(VALU_DEP_3) | instskip(SKIP_2) | instid1(VALU_DEP_3)
	v_dual_mul_f32 v48, 0xbeb8f4ab, v11 :: v_dual_mul_f32 v49, 0xbeb8f4ab, v44
	v_dual_sub_f32 v45, v36, v18 :: v_dual_add_f32 v72, v19, v37
	v_mul_f32_e32 v57, 0xbf2c7751, v44
	v_fmamk_f32 v0, v79, 0x3f6eb680, v48
	s_delay_alu instid0(VALU_DEP_3) | instskip(SKIP_2) | instid1(VALU_DEP_3)
	v_dual_mul_f32 v50, 0xbf2c7751, v46 :: v_dual_mul_f32 v51, 0xbf2c7751, v45
	v_fma_f32 v1, 0x3f6eb680, v80, -v49
	v_dual_mul_f32 v54, 0xbf2c7751, v11 :: v_dual_sub_f32 v65, v39, v17
	v_dual_fmamk_f32 v2, v71, 0x3f3d2fb0, v50 :: v_dual_sub_f32 v47, v38, v16
	s_delay_alu instid0(VALU_DEP_3) | instskip(SKIP_1) | instid1(VALU_DEP_3)
	v_dual_add_f32 v0, v0, v12 :: v_dual_add_f32 v1, v1, v13
	v_fma_f32 v3, 0x3f3d2fb0, v72, -v51
	v_dual_add_f32 v74, v16, v38 :: v_dual_mul_f32 v53, 0xbf65296c, v47
	v_dual_mul_f32 v52, 0xbf65296c, v65 :: v_dual_sub_f32 v137, v33, v23
	v_dual_add_f32 v76, v17, v39 :: v_dual_add_f32 v89, v22, v32
	v_sub_f32_e32 v88, v32, v22
	v_dual_add_f32 v0, v2, v0 :: v_dual_add_f32 v1, v3, v1
	s_delay_alu instid0(VALU_DEP_4) | instskip(NEXT) | instid1(VALU_DEP_4)
	v_dual_fmamk_f32 v2, v74, 0x3ee437d1, v52 :: v_dual_add_f32 v83, v23, v33
	v_fma_f32 v3, 0x3ee437d1, v76, -v53
	s_delay_alu instid0(VALU_DEP_4) | instskip(NEXT) | instid1(VALU_DEP_3)
	v_dual_mul_f32 v55, 0xbf7ee86f, v137 :: v_dual_mul_f32 v56, 0xbf7ee86f, v88
	v_dual_add_f32 v0, v2, v0 :: v_dual_sub_f32 v139, v35, v21
	s_delay_alu instid0(VALU_DEP_2) | instskip(SKIP_1) | instid1(VALU_DEP_4)
	v_dual_add_f32 v1, v3, v1 :: v_dual_fmamk_f32 v2, v89, 0x3dbcf732, v55
	v_add_f32_e32 v97, v20, v34
	v_fma_f32 v3, 0x3dbcf732, v83, -v56
	v_sub_f32_e32 v138, v34, v20
	v_dual_add_f32 v98, v21, v35 :: v_dual_add_f32 v99, v26, v40
	v_dual_sub_f32 v148, v40, v26 :: v_dual_sub_f32 v151, v43, v25
	s_delay_alu instid0(VALU_DEP_4) | instskip(NEXT) | instid1(VALU_DEP_4)
	v_dual_add_f32 v1, v3, v1 :: v_dual_mul_f32 v58, 0xbf763a35, v139
	v_dual_mul_f32 v59, 0xbf763a35, v138 :: v_dual_add_f32 v0, v2, v0
	v_dual_sub_f32 v149, v41, v27 :: v_dual_add_f32 v100, v27, v41
	s_delay_alu instid0(VALU_DEP_4) | instskip(NEXT) | instid1(VALU_DEP_3)
	v_mul_f32_e32 v61, 0xbf4c4adb, v148
	v_fma_f32 v3, 0xbe8c1d8e, v98, -v59
	v_fmamk_f32 v2, v97, 0xbe8c1d8e, v58
	s_delay_alu instid0(VALU_DEP_4) | instskip(SKIP_1) | instid1(VALU_DEP_4)
	v_dual_mul_f32 v60, 0xbf4c4adb, v149 :: v_dual_add_f32 v101, v24, v42
	v_sub_f32_e32 v159, v28, v30
	v_add_f32_e32 v1, v3, v1
	v_fma_f32 v3, 0xbf1a4643, v100, -v61
	v_sub_f32_e32 v150, v42, v24
	v_fmamk_f32 v4, v79, 0x3f3d2fb0, v54
	v_mul_f32_e32 v81, 0xbf7ee86f, v46
	v_dual_mul_f32 v62, 0xbf06c442, v151 :: v_dual_add_f32 v111, v30, v28
	v_dual_add_f32 v1, v3, v1 :: v_dual_add_f32 v0, v2, v0
	v_mul_f32_e32 v63, 0xbf06c442, v150
	v_fmamk_f32 v2, v99, 0xbf1a4643, v60
	v_dual_mul_f32 v106, 0xbf7ee86f, v151 :: v_dual_mul_f32 v119, 0xbf7ee86f, v150
	v_add_f32_e32 v102, v25, v43
	v_fmamk_f32 v6, v71, 0x3dbcf732, v81
	s_delay_alu instid0(VALU_DEP_4)
	v_add_f32_e32 v0, v2, v0
	v_mul_f32_e32 v82, 0xbf4c4adb, v65
	v_fmamk_f32 v10, v101, 0x3dbcf732, v106
	v_mul_f32_e32 v90, 0xbe3c28d5, v137
	v_add_f32_e32 v4, v4, v12
	v_fma_f32 v3, 0xbf59a7d5, v102, -v63
	v_fma_f32 v5, 0x3f3d2fb0, v80, -v57
	v_mul_f32_e32 v91, 0x3f06c442, v139
	v_dual_mul_f32 v92, 0xbf4c4adb, v47 :: v_dual_mul_f32 v115, 0xbf4c4adb, v45
	v_add_f32_e32 v4, v6, v4
	v_fmamk_f32 v6, v74, 0xbf1a4643, v82
	v_dual_fmamk_f32 v2, v101, 0xbf59a7d5, v62 :: v_dual_add_f32 v1, v3, v1
	v_dual_sub_f32 v160, v29, v31 :: v_dual_mul_f32 v93, 0xbe3c28d5, v88
	s_delay_alu instid0(VALU_DEP_3) | instskip(NEXT) | instid1(VALU_DEP_3)
	v_add_f32_e32 v3, v6, v4
	v_add_f32_e32 v0, v2, v0
	v_mul_f32_e32 v94, 0xbf7ee86f, v45
	v_dual_add_f32 v2, v5, v13 :: v_dual_mul_f32 v95, 0x3f06c442, v138
	v_fma_f32 v4, 0xbf1a4643, v76, -v92
	v_dual_add_f32 v112, v31, v29 :: v_dual_mul_f32 v67, 0xbe3c28d5, v159
	s_delay_alu instid0(VALU_DEP_4) | instskip(SKIP_2) | instid1(VALU_DEP_4)
	v_fma_f32 v5, 0x3dbcf732, v72, -v94
	v_dual_mul_f32 v73, 0x3f763a35, v149 :: v_dual_mul_f32 v96, 0x3f763a35, v148
	v_mul_f32_e32 v103, 0x3f763a35, v137
	v_fma_f32 v7, 0xbf7ba420, v112, -v67
	s_delay_alu instid0(VALU_DEP_4) | instskip(SKIP_4) | instid1(VALU_DEP_4)
	v_add_f32_e32 v2, v5, v2
	v_fmamk_f32 v5, v89, 0xbf7ba420, v90
	v_mul_f32_e32 v107, 0xbf65296c, v11
	v_mul_f32_e32 v109, 0x3e3c28d5, v65
	;; [unrolled: 1-line block ×3, first 2 shown]
	v_dual_add_f32 v2, v4, v2 :: v_dual_add_f32 v3, v5, v3
	v_fma_f32 v4, 0xbf7ba420, v83, -v93
	v_fmamk_f32 v5, v97, 0xbf59a7d5, v91
	v_mul_f32_e32 v66, 0xbe3c28d5, v160
	v_mul_f32_e32 v75, 0x3f65296c, v151
	;; [unrolled: 1-line block ×3, first 2 shown]
	s_delay_alu instid0(VALU_DEP_4) | instskip(NEXT) | instid1(VALU_DEP_4)
	v_dual_add_f32 v70, v7, v1 :: v_dual_add_f32 v3, v5, v3
	v_fmamk_f32 v6, v111, 0xbf7ba420, v66
	v_dual_fmamk_f32 v5, v99, 0xbe8c1d8e, v73 :: v_dual_add_f32 v2, v4, v2
	v_fma_f32 v4, 0xbf59a7d5, v98, -v95
	v_fma_f32 v7, 0x3f6eb680, v112, -v84
	s_delay_alu instid0(VALU_DEP_4) | instskip(NEXT) | instid1(VALU_DEP_3)
	v_dual_add_f32 v69, v6, v0 :: v_dual_mul_f32 v108, 0xbf4c4adb, v46
	v_dual_mul_f32 v77, 0x3eb8f4ab, v160 :: v_dual_add_f32 v0, v4, v2
	v_add_f32_e32 v2, v5, v3
	v_fma_f32 v3, 0xbe8c1d8e, v100, -v96
	v_fmamk_f32 v4, v79, 0x3ee437d1, v107
	v_fmamk_f32 v6, v71, 0xbf1a4643, v108
	v_mul_f32_e32 v114, 0xbf65296c, v44
	s_delay_alu instid0(VALU_DEP_4) | instskip(NEXT) | instid1(VALU_DEP_4)
	v_dual_mul_f32 v105, 0xbeb8f4ab, v149 :: v_dual_add_f32 v0, v3, v0
	v_dual_fmamk_f32 v3, v101, 0x3ee437d1, v75 :: v_dual_add_f32 v4, v4, v12
	v_mul_f32_e32 v116, 0x3e3c28d5, v47
	v_mul_f32_e32 v117, 0x3f763a35, v88
	;; [unrolled: 1-line block ×3, first 2 shown]
	s_delay_alu instid0(VALU_DEP_4)
	v_dual_add_f32 v1, v3, v2 :: v_dual_add_f32 v2, v6, v4
	v_fma_f32 v6, 0xbf1a4643, v72, -v115
	v_mul_f32_e32 v78, 0x3f65296c, v150
	v_fmamk_f32 v4, v111, 0x3f6eb680, v77
	v_mul_f32_e32 v113, 0xbeb8f4ab, v148
	v_mul_f32_e32 v123, 0xbf7ee86f, v11
	;; [unrolled: 1-line block ×3, first 2 shown]
	v_fma_f32 v5, 0x3ee437d1, v102, -v78
	v_mul_f32_e32 v110, 0xbf06c442, v160
	v_mul_f32_e32 v133, 0xbe3c28d5, v45
	;; [unrolled: 1-line block ×3, first 2 shown]
	s_delay_alu instid0(VALU_DEP_4) | instskip(SKIP_4) | instid1(VALU_DEP_4)
	v_dual_mul_f32 v125, 0xbf65296c, v139 :: v_dual_add_f32 v0, v5, v0
	v_fmamk_f32 v3, v74, 0xbf7ba420, v109
	v_fma_f32 v5, 0x3ee437d1, v80, -v114
	v_dual_mul_f32 v122, 0x3eb8f4ab, v137 :: v_dual_mul_f32 v131, 0x3eb8f4ab, v88
	v_mul_f32_e32 v156, 0xbf763a35, v44
	v_dual_add_f32 v2, v3, v2 :: v_dual_fmamk_f32 v3, v89, 0xbe8c1d8e, v103
	s_delay_alu instid0(VALU_DEP_4) | instskip(SKIP_1) | instid1(VALU_DEP_3)
	v_dual_add_f32 v5, v5, v13 :: v_dual_mul_f32 v178, 0xbf06c442, v11
	v_dual_mul_f32 v144, 0x3f06c442, v46 :: v_dual_mul_f32 v157, 0x3f06c442, v45
	v_dual_add_f32 v2, v3, v2 :: v_dual_fmamk_f32 v3, v97, 0x3f3d2fb0, v104
	s_delay_alu instid0(VALU_DEP_3)
	v_add_f32_e32 v5, v6, v5
	v_fma_f32 v6, 0xbf7ba420, v76, -v116
	v_fma_f32 v140, 0xbe8c1d8e, v80, -v156
	v_fmamk_f32 v180, v79, 0xbf59a7d5, v178
	v_add_f32_e32 v2, v3, v2
	v_fmamk_f32 v3, v99, 0x3f6eb680, v105
	v_add_f32_e32 v5, v6, v5
	v_fma_f32 v6, 0xbe8c1d8e, v83, -v117
	v_dual_mul_f32 v179, 0x3f65296c, v46 :: v_dual_add_f32 v182, v180, v12
	s_delay_alu instid0(VALU_DEP_4) | instskip(NEXT) | instid1(VALU_DEP_3)
	v_dual_add_f32 v3, v3, v2 :: v_dual_add_f32 v2, v4, v1
	v_add_f32_e32 v4, v6, v5
	v_fma_f32 v5, 0x3f3d2fb0, v98, -v118
	s_delay_alu instid0(VALU_DEP_3) | instskip(SKIP_2) | instid1(VALU_DEP_4)
	v_dual_add_f32 v140, v140, v13 :: v_dual_add_f32 v1, v10, v3
	v_add_f32_e32 v3, v7, v0
	v_fma_f32 v7, 0x3dbcf732, v102, -v119
	v_add_f32_e32 v4, v5, v4
	v_fma_f32 v5, 0x3f6eb680, v100, -v113
	v_fmamk_f32 v10, v74, 0xbe8c1d8e, v121
	v_fma_f32 v152, 0xbf59a7d5, v72, -v157
	v_fmamk_f32 v184, v71, 0x3ee437d1, v179
	v_mul_f32_e32 v154, 0x3f2c7751, v47
	v_dual_add_f32 v4, v5, v4 :: v_dual_fmamk_f32 v5, v71, 0xbf7ba420, v124
	v_mul_f32_e32 v146, 0xbeb8f4ab, v151
	v_dual_add_f32 v152, v152, v140 :: v_dual_mul_f32 v167, 0x3f763a35, v46
	s_delay_alu instid0(VALU_DEP_3)
	v_add_f32_e32 v4, v7, v4
	v_fmamk_f32 v6, v111, 0xbf59a7d5, v110
	v_fmamk_f32 v7, v89, 0x3f6eb680, v122
	v_fma_f32 v155, 0x3f3d2fb0, v76, -v154
	v_mul_f32_e32 v126, 0xbf06c442, v149
	v_dual_mul_f32 v180, 0xbf7ee86f, v65 :: v_dual_mul_f32 v191, 0xbf7ee86f, v47
	v_dual_add_f32 v0, v6, v1 :: v_dual_fmamk_f32 v1, v79, 0x3dbcf732, v123
	s_delay_alu instid0(VALU_DEP_2) | instskip(SKIP_1) | instid1(VALU_DEP_3)
	v_dual_add_f32 v155, v155, v152 :: v_dual_fmamk_f32 v186, v74, 0x3dbcf732, v180
	v_fmamk_f32 v158, v101, 0x3f6eb680, v146
	v_dual_fmamk_f32 v64, v99, 0xbf59a7d5, v126 :: v_dual_add_f32 v1, v1, v12
	v_mul_f32_e32 v134, 0x3f763a35, v47
	v_mul_f32_e32 v120, 0xbf06c442, v159
	v_dual_mul_f32 v128, 0xbf65296c, v138 :: v_dual_mul_f32 v141, 0xbf65296c, v137
	s_delay_alu instid0(VALU_DEP_4) | instskip(SKIP_2) | instid1(VALU_DEP_3)
	v_add_f32_e32 v1, v5, v1
	v_mul_f32_e32 v153, 0xbf65296c, v88
	v_dual_mul_f32 v142, 0x3f2c7751, v65 :: v_dual_mul_f32 v129, 0x3f2c7751, v160
	v_dual_mul_f32 v136, 0x3f2c7751, v159 :: v_dual_add_f32 v1, v10, v1
	v_fma_f32 v10, 0xbf59a7d5, v112, -v120
	s_delay_alu instid0(VALU_DEP_4) | instskip(SKIP_1) | instid1(VALU_DEP_4)
	v_fma_f32 v161, 0x3ee437d1, v83, -v153
	v_mul_f32_e32 v130, 0xbf06c442, v148
	v_dual_mul_f32 v140, 0xbf4c4adb, v160 :: v_dual_add_f32 v1, v7, v1
	v_fmamk_f32 v7, v97, 0x3ee437d1, v125
	s_delay_alu instid0(VALU_DEP_4) | instskip(SKIP_1) | instid1(VALU_DEP_3)
	v_dual_add_f32 v155, v161, v155 :: v_dual_mul_f32 v192, 0x3f4c4adb, v88
	v_mul_f32_e32 v164, 0xbf4c4adb, v11
	v_dual_mul_f32 v172, 0xbeb8f4ab, v47 :: v_dual_add_f32 v7, v7, v1
	v_mul_f32_e32 v132, 0xbf7ee86f, v44
	v_add_f32_e32 v1, v10, v4
	v_fma_f32 v187, 0xbf1a4643, v83, -v192
	v_mul_f32_e32 v170, 0xbf4c4adb, v44
	v_mul_f32_e32 v152, 0xbe3c28d5, v138
	v_fma_f32 v6, 0x3dbcf732, v80, -v132
	v_dual_mul_f32 v169, 0xbf06c442, v137 :: v_dual_mul_f32 v174, 0xbf06c442, v88
	v_mul_f32_e32 v176, 0x3f7ee86f, v138
	v_mul_f32_e32 v168, 0xbeb8f4ab, v65
	s_delay_alu instid0(VALU_DEP_4) | instskip(SKIP_3) | instid1(VALU_DEP_3)
	v_add_f32_e32 v5, v6, v13
	v_fma_f32 v6, 0xbf7ba420, v72, -v133
	v_dual_mul_f32 v166, 0xbf2c7751, v149 :: v_dual_mul_f32 v173, 0xbf2c7751, v148
	v_dual_mul_f32 v188, 0xbf06c442, v44 :: v_dual_mul_f32 v47, 0xbf06c442, v47
	v_add_f32_e32 v5, v6, v5
	v_fma_f32 v6, 0xbe8c1d8e, v76, -v134
	s_delay_alu instid0(VALU_DEP_4) | instskip(NEXT) | instid1(VALU_DEP_4)
	v_fma_f32 v177, 0x3f3d2fb0, v100, -v173
	v_fma_f32 v185, 0xbf59a7d5, v80, -v188
	v_mul_f32_e32 v46, 0x3eb8f4ab, v46
	s_delay_alu instid0(VALU_DEP_4)
	v_dual_mul_f32 v88, 0x3f2c7751, v88 :: v_dual_add_f32 v5, v6, v5
	v_fma_f32 v6, 0x3f6eb680, v83, -v131
	v_mul_f32_e32 v44, 0xbe3c28d5, v44
	v_mul_f32_e32 v65, 0xbf06c442, v65
	s_load_b64 s[8:9], s[0:1], 0x8
	global_wb scope:SCOPE_SE
	v_add_f32_e32 v5, v6, v5
	v_fma_f32 v6, 0x3ee437d1, v98, -v128
	s_wait_kmcnt 0x0
	s_barrier_signal -1
	s_barrier_wait -1
	global_inv scope:SCOPE_SE
	v_dual_mul_f32 v175, 0xbe3c28d5, v150 :: v_dual_add_f32 v4, v6, v5
	v_fma_f32 v6, 0xbf59a7d5, v100, -v130
	v_mul_f32_e32 v143, 0xbf763a35, v11
	v_dual_add_f32 v5, v64, v7 :: v_dual_fmamk_f32 v64, v71, 0xbf59a7d5, v144
	s_delay_alu instid0(VALU_DEP_3) | instskip(NEXT) | instid1(VALU_DEP_3)
	v_dual_mul_f32 v165, 0x3f7ee86f, v139 :: v_dual_add_f32 v4, v6, v4
	v_fmamk_f32 v7, v79, 0xbe8c1d8e, v143
	v_fma_f32 v183, 0xbf7ba420, v102, -v175
	v_mul_f32_e32 v189, 0x3f65296c, v45
	s_delay_alu instid0(VALU_DEP_3) | instskip(SKIP_1) | instid1(VALU_DEP_1)
	v_add_f32_e32 v7, v7, v12
	v_mul_f32_e32 v135, 0x3f4c4adb, v150
	v_fma_f32 v10, 0xbf1a4643, v102, -v135
	s_delay_alu instid0(VALU_DEP_1) | instskip(NEXT) | instid1(VALU_DEP_1)
	v_dual_mul_f32 v127, 0x3f4c4adb, v151 :: v_dual_add_f32 v4, v10, v4
	v_fmamk_f32 v6, v101, 0xbf1a4643, v127
	s_delay_alu instid0(VALU_DEP_1) | instskip(SKIP_2) | instid1(VALU_DEP_2)
	v_dual_fmamk_f32 v10, v111, 0x3f3d2fb0, v129 :: v_dual_add_f32 v5, v6, v5
	v_dual_add_f32 v6, v64, v7 :: v_dual_fmamk_f32 v7, v74, 0x3f3d2fb0, v142
	v_fma_f32 v64, 0x3f3d2fb0, v112, -v136
	v_dual_add_f32 v6, v7, v6 :: v_dual_fmamk_f32 v7, v89, 0x3ee437d1, v141
	s_delay_alu instid0(VALU_DEP_1) | instskip(NEXT) | instid1(VALU_DEP_1)
	v_dual_mul_f32 v147, 0xbe3c28d5, v139 :: v_dual_add_f32 v6, v7, v6
	v_fmamk_f32 v7, v97, 0xbf7ba420, v147
	s_delay_alu instid0(VALU_DEP_1) | instskip(NEXT) | instid1(VALU_DEP_1)
	v_dual_mul_f32 v145, 0x3f7ee86f, v149 :: v_dual_add_f32 v6, v7, v6
	v_fmamk_f32 v7, v99, 0x3dbcf732, v145
	s_delay_alu instid0(VALU_DEP_1) | instskip(NEXT) | instid1(VALU_DEP_1)
	v_dual_add_f32 v7, v7, v6 :: v_dual_add_f32 v6, v10, v5
	v_dual_fmamk_f32 v10, v111, 0xbf1a4643, v140 :: v_dual_add_f32 v5, v158, v7
	v_add_f32_e32 v7, v64, v4
	v_fma_f32 v64, 0xbf1a4643, v80, -v170
	v_fma_f32 v158, 0xbf7ba420, v98, -v152
	s_delay_alu instid0(VALU_DEP_4) | instskip(SKIP_2) | instid1(VALU_DEP_4)
	v_add_f32_e32 v4, v10, v5
	v_fmamk_f32 v10, v79, 0xbf1a4643, v164
	v_mul_f32_e32 v171, 0x3f763a35, v45
	v_dual_add_f32 v64, v64, v13 :: v_dual_add_f32 v5, v158, v155
	s_delay_alu instid0(VALU_DEP_3) | instskip(NEXT) | instid1(VALU_DEP_3)
	v_dual_mul_f32 v45, 0x3eb8f4ab, v45 :: v_dual_add_f32 v10, v10, v12
	v_fma_f32 v162, 0xbe8c1d8e, v72, -v171
	v_fmamk_f32 v161, v71, 0xbe8c1d8e, v167
	s_delay_alu instid0(VALU_DEP_3) | instskip(SKIP_1) | instid1(VALU_DEP_4)
	v_fmamk_f32 v199, v72, 0x3f6eb680, v45
	v_fma_f32 v45, 0x3f6eb680, v72, -v45
	v_add_f32_e32 v64, v162, v64
	v_fma_f32 v162, 0x3f6eb680, v76, -v172
	v_dual_mul_f32 v155, 0x3f7ee86f, v148 :: v_dual_add_f32 v10, v161, v10
	s_delay_alu instid0(VALU_DEP_2) | instskip(SKIP_1) | instid1(VALU_DEP_3)
	v_add_f32_e32 v64, v162, v64
	v_fma_f32 v162, 0xbf59a7d5, v83, -v174
	v_fma_f32 v158, 0x3dbcf732, v100, -v155
	s_delay_alu instid0(VALU_DEP_2) | instskip(SKIP_1) | instid1(VALU_DEP_3)
	v_add_f32_e32 v64, v162, v64
	v_fma_f32 v162, 0x3dbcf732, v98, -v176
	v_dual_add_f32 v5, v158, v5 :: v_dual_mul_f32 v158, 0xbeb8f4ab, v150
	s_delay_alu instid0(VALU_DEP_2) | instskip(SKIP_1) | instid1(VALU_DEP_3)
	v_add_f32_e32 v64, v162, v64
	v_fmamk_f32 v161, v74, 0x3f6eb680, v168
	v_fma_f32 v163, 0x3f6eb680, v102, -v158
	v_fmamk_f32 v162, v99, 0x3f3d2fb0, v166
	s_delay_alu instid0(VALU_DEP_4) | instskip(NEXT) | instid1(VALU_DEP_4)
	v_add_f32_e32 v64, v177, v64
	v_add_f32_e32 v10, v161, v10
	v_fmamk_f32 v161, v89, 0xbf59a7d5, v169
	v_add_f32_e32 v5, v163, v5
	v_mul_f32_e32 v163, 0xbe3c28d5, v151
	v_dual_mul_f32 v177, 0x3f65296c, v159 :: v_dual_add_f32 v64, v183, v64
	s_delay_alu instid0(VALU_DEP_4) | instskip(SKIP_1) | instid1(VALU_DEP_4)
	v_add_f32_e32 v10, v161, v10
	v_fmamk_f32 v161, v97, 0x3dbcf732, v165
	v_fmamk_f32 v181, v101, 0xbf7ba420, v163
	s_delay_alu instid0(VALU_DEP_4) | instskip(NEXT) | instid1(VALU_DEP_3)
	v_fma_f32 v195, 0x3ee437d1, v112, -v177
	v_dual_add_f32 v10, v161, v10 :: v_dual_mul_f32 v161, 0xbf4c4adb, v159
	s_delay_alu instid0(VALU_DEP_1) | instskip(SKIP_1) | instid1(VALU_DEP_3)
	v_add_f32_e32 v10, v162, v10
	v_mul_f32_e32 v162, 0x3f65296c, v160
	v_fma_f32 v190, 0xbf1a4643, v112, -v161
	s_delay_alu instid0(VALU_DEP_3) | instskip(SKIP_4) | instid1(VALU_DEP_4)
	v_add_f32_e32 v10, v181, v10
	v_dual_add_f32 v181, v184, v182 :: v_dual_add_f32 v184, v185, v13
	v_fma_f32 v185, 0x3ee437d1, v72, -v189
	v_mul_f32_e32 v182, 0x3f4c4adb, v137
	v_add_f32_e32 v5, v190, v5
	v_dual_add_f32 v181, v186, v181 :: v_dual_mul_f32 v190, 0x3f2c7751, v150
	v_mul_f32_e32 v137, 0x3f2c7751, v137
	v_add_f32_e32 v183, v185, v184
	v_fma_f32 v185, 0x3dbcf732, v76, -v191
	v_mul_f32_e32 v184, 0xbeb8f4ab, v139
	v_mul_f32_e32 v139, 0xbf4c4adb, v139
	v_fmamk_f32 v186, v89, 0xbf1a4643, v182
	s_delay_alu instid0(VALU_DEP_4) | instskip(NEXT) | instid1(VALU_DEP_4)
	v_add_f32_e32 v183, v185, v183
	v_fmamk_f32 v194, v97, 0x3f6eb680, v184
	v_mul_f32_e32 v185, 0xbe3c28d5, v149
	s_delay_alu instid0(VALU_DEP_4) | instskip(NEXT) | instid1(VALU_DEP_4)
	v_dual_add_f32 v181, v186, v181 :: v_dual_mul_f32 v186, 0xbeb8f4ab, v138
	v_add_f32_e32 v183, v187, v183
	v_mul_f32_e32 v187, 0xbe3c28d5, v148
	s_delay_alu instid0(VALU_DEP_3) | instskip(NEXT) | instid1(VALU_DEP_4)
	v_dual_fmamk_f32 v197, v99, 0xbf7ba420, v185 :: v_dual_add_f32 v194, v194, v181
	v_fma_f32 v196, 0x3f6eb680, v98, -v186
	v_mul_f32_e32 v181, 0x3f2c7751, v151
	v_mul_f32_e32 v149, 0x3f65296c, v149
	s_delay_alu instid0(VALU_DEP_4) | instskip(NEXT) | instid1(VALU_DEP_4)
	v_dual_fmamk_f32 v193, v111, 0x3ee437d1, v162 :: v_dual_add_f32 v194, v197, v194
	v_dual_add_f32 v196, v196, v183 :: v_dual_mul_f32 v183, 0xbf763a35, v160
	v_fma_f32 v197, 0xbf7ba420, v100, -v187
	v_fmamk_f32 v198, v101, 0x3f3d2fb0, v181
	s_delay_alu instid0(VALU_DEP_4)
	v_add_f32_e32 v10, v193, v10
	v_mul_f32_e32 v138, 0xbf4c4adb, v138
	v_mul_f32_e32 v151, 0xbf763a35, v151
	v_add_f32_e32 v193, v197, v196
	v_fmamk_f32 v197, v111, 0xbe8c1d8e, v183
	v_fma_f32 v196, 0x3f3d2fb0, v102, -v190
	v_add_f32_e32 v194, v198, v194
	v_dual_mul_f32 v198, 0xbe3c28d5, v11 :: v_dual_add_f32 v11, v195, v64
	s_delay_alu instid0(VALU_DEP_3) | instskip(NEXT) | instid1(VALU_DEP_3)
	v_dual_mul_f32 v148, 0x3f65296c, v148 :: v_dual_add_f32 v195, v196, v193
	v_dual_mul_f32 v193, 0xbf763a35, v159 :: v_dual_add_f32 v64, v197, v194
	s_delay_alu instid0(VALU_DEP_3)
	v_fma_f32 v194, 0xbf7ba420, v79, -v198
	v_fmamk_f32 v196, v80, 0xbf7ba420, v44
	v_fma_f32 v197, 0x3f6eb680, v71, -v46
	v_fmac_f32_e32 v198, 0xbf7ba420, v79
	v_fma_f32 v44, 0xbf7ba420, v80, -v44
	v_add_f32_e32 v194, v194, v12
	v_add_f32_e32 v196, v196, v13
	v_fmac_f32_e32 v46, 0x3f6eb680, v71
	v_add_f32_e32 v198, v198, v12
	v_add_f32_e32 v44, v44, v13
	;; [unrolled: 1-line block ×3, first 2 shown]
	v_fma_f32 v197, 0xbf59a7d5, v74, -v65
	v_dual_add_f32 v196, v199, v196 :: v_dual_fmamk_f32 v199, v76, 0xbf59a7d5, v47
	v_add_f32_e32 v46, v46, v198
	v_fmac_f32_e32 v65, 0xbf59a7d5, v74
	s_delay_alu instid0(VALU_DEP_4)
	v_add_f32_e32 v194, v197, v194
	v_fma_f32 v197, 0x3f3d2fb0, v89, -v137
	v_add_f32_e32 v44, v45, v44
	v_fma_f32 v45, 0xbf59a7d5, v76, -v47
	v_dual_mul_f32 v47, 0xbf763a35, v150 :: v_dual_add_f32 v196, v199, v196
	v_dual_fmamk_f32 v199, v83, 0x3f3d2fb0, v88 :: v_dual_add_f32 v46, v65, v46
	v_fmac_f32_e32 v137, 0x3f3d2fb0, v89
	v_fma_f32 v65, 0xbe8c1d8e, v101, -v151
	v_dual_fmac_f32 v151, 0xbe8c1d8e, v101 :: v_dual_add_f32 v194, v197, v194
	v_fma_f32 v197, 0xbf1a4643, v97, -v139
	v_add_f32_e32 v44, v45, v44
	v_fma_f32 v45, 0x3f3d2fb0, v83, -v88
	v_dual_add_f32 v196, v199, v196 :: v_dual_fmamk_f32 v199, v98, 0xbf1a4643, v138
	s_delay_alu instid0(VALU_DEP_4)
	v_add_f32_e32 v194, v197, v194
	v_fma_f32 v197, 0x3ee437d1, v99, -v149
	v_dual_add_f32 v46, v137, v46 :: v_dual_fmac_f32 v139, 0xbf1a4643, v97
	v_add_f32_e32 v44, v45, v44
	v_fma_f32 v45, 0xbf1a4643, v98, -v138
	v_dual_add_f32 v196, v199, v196 :: v_dual_fmamk_f32 v199, v100, 0x3ee437d1, v148
	v_add_f32_e32 v194, v197, v194
	v_dual_add_f32 v46, v139, v46 :: v_dual_fmac_f32 v149, 0x3ee437d1, v99
	s_delay_alu instid0(VALU_DEP_4)
	v_add_f32_e32 v44, v45, v44
	v_fma_f32 v45, 0x3ee437d1, v100, -v148
	v_add_f32_e32 v196, v199, v196
	v_dual_fmamk_f32 v88, v102, 0xbe8c1d8e, v47 :: v_dual_add_f32 v137, v65, v194
	v_dual_mul_f32 v138, 0x3f7ee86f, v160 :: v_dual_mul_f32 v65, 0x3f7ee86f, v159
	v_add_f32_e32 v46, v149, v46
	v_add_f32_e32 v44, v45, v44
	v_fma_f32 v45, 0xbe8c1d8e, v102, -v47
	v_fma_f32 v200, 0xbe8c1d8e, v112, -v193
	v_fmamk_f32 v139, v112, 0x3dbcf732, v65
	v_add_f32_e32 v88, v88, v196
	v_fma_f32 v47, 0x3dbcf732, v111, -v138
	v_add_f32_e32 v46, v151, v46
	v_fmac_f32_e32 v138, 0x3dbcf732, v111
	v_add_f32_e32 v148, v45, v44
	v_fma_f32 v149, 0x3dbcf732, v112, -v65
	v_dual_add_f32 v65, v200, v195 :: v_dual_add_f32 v44, v47, v137
	s_delay_alu instid0(VALU_DEP_4) | instskip(NEXT) | instid1(VALU_DEP_3)
	v_dual_add_f32 v45, v139, v88 :: v_dual_add_f32 v46, v138, v46
	v_add_f32_e32 v47, v149, v148
	v_mul_lo_u16 v88, v87, 17
	s_and_saveexec_b32 s0, vcc_lo
	s_cbranch_execz .LBB0_7
; %bb.6:
	v_dual_mul_f32 v197, 0xbf59a7d5, v79 :: v_dual_mul_f32 v198, 0xbf59a7d5, v80
	v_mul_f32_e32 v159, 0x3dbcf732, v80
	v_dual_mul_f32 v137, 0x3f6eb680, v79 :: v_dual_mul_f32 v138, 0x3f6eb680, v80
	v_dual_mul_f32 v139, 0x3f3d2fb0, v79 :: v_dual_mul_f32 v148, 0x3f3d2fb0, v80
	s_delay_alu instid0(VALU_DEP_4)
	v_add_f32_e32 v188, v188, v198
	v_dual_mul_f32 v198, 0x3ee437d1, v72 :: v_dual_mul_f32 v149, 0x3ee437d1, v79
	v_mul_f32_e32 v150, 0x3ee437d1, v80
	v_dual_mul_f32 v151, 0x3dbcf732, v79 :: v_dual_mul_f32 v200, 0x3dbcf732, v72
	v_mul_f32_e32 v160, 0xbe8c1d8e, v79
	v_dual_mul_f32 v194, 0xbe8c1d8e, v80 :: v_dual_mul_f32 v207, 0xbe8c1d8e, v71
	v_dual_mul_f32 v195, 0xbf1a4643, v79 :: v_dual_mul_f32 v196, 0xbf1a4643, v80
	;; [unrolled: 1-line block ×3, first 2 shown]
	v_dual_mul_f32 v199, 0x3dbcf732, v71 :: v_dual_add_f32 v188, v188, v13
	v_dual_mul_f32 v201, 0xbf1a4643, v71 :: v_dual_mul_f32 v202, 0xbf1a4643, v72
	v_dual_mul_f32 v203, 0xbf7ba420, v71 :: v_dual_mul_f32 v204, 0xbf7ba420, v72
	;; [unrolled: 1-line block ×3, first 2 shown]
	v_mul_f32_e32 v71, 0x3ee437d1, v71
	v_dual_add_f32 v189, v189, v198 :: v_dual_mul_f32 v198, 0x3dbcf732, v76
	v_mul_f32_e32 v72, 0xbe8c1d8e, v72
	v_sub_f32_e32 v178, v197, v178
	v_dual_mul_f32 v208, 0x3ee437d1, v74 :: v_dual_mul_f32 v209, 0x3ee437d1, v76
	s_delay_alu instid0(VALU_DEP_4) | instskip(SKIP_3) | instid1(VALU_DEP_3)
	v_dual_add_f32 v188, v189, v188 :: v_dual_add_f32 v189, v191, v198
	v_mul_f32_e32 v191, 0xbf1a4643, v83
	v_mul_f32_e32 v213, 0xbe8c1d8e, v74
	v_dual_mul_f32 v210, 0xbf1a4643, v74 :: v_dual_mul_f32 v211, 0xbf1a4643, v76
	v_dual_add_f32 v188, v189, v188 :: v_dual_add_f32 v189, v192, v191
	v_mul_f32_e32 v191, 0xbe8c1d8e, v76
	v_dual_mul_f32 v198, 0xbf7ba420, v74 :: v_dual_sub_f32 v71, v71, v179
	v_dual_mul_f32 v192, 0x3f3d2fb0, v74 :: v_dual_mul_f32 v197, 0x3f3d2fb0, v76
	s_delay_alu instid0(VALU_DEP_4) | instskip(SKIP_3) | instid1(VALU_DEP_4)
	v_dual_add_f32 v188, v189, v188 :: v_dual_mul_f32 v189, 0x3f6eb680, v98
	v_dual_mul_f32 v179, 0x3f6eb680, v74 :: v_dual_add_f32 v178, v178, v12
	v_mul_f32_e32 v74, 0x3dbcf732, v74
	v_mul_f32_e32 v212, 0xbf7ba420, v76
	v_add_f32_e32 v186, v186, v189
	v_mul_f32_e32 v189, 0x3dbcf732, v89
	v_dual_add_f32 v71, v71, v178 :: v_dual_mul_f32 v178, 0xbf7ba420, v100
	v_sub_f32_e32 v74, v74, v180
	v_add_f32_e32 v170, v170, v196
	v_mul_f32_e32 v76, 0x3f6eb680, v76
	v_add_f32_e32 v186, v186, v188
	s_delay_alu instid0(VALU_DEP_4) | instskip(SKIP_4) | instid1(VALU_DEP_4)
	v_dual_add_f32 v178, v187, v178 :: v_dual_add_f32 v71, v74, v71
	v_mul_f32_e32 v74, 0x3f3d2fb0, v102
	v_dual_add_f32 v72, v171, v72 :: v_dual_mul_f32 v171, 0x3f3d2fb0, v101
	v_add_f32_e32 v170, v170, v13
	v_mul_f32_e32 v180, 0x3dbcf732, v83
	v_add_f32_e32 v74, v190, v74
	v_mul_f32_e32 v188, 0xbf1a4643, v89
	v_dual_sub_f32 v171, v171, v181 :: v_dual_add_f32 v178, v178, v186
	v_add_f32_e32 v72, v72, v170
	v_mul_f32_e32 v170, 0xbe8c1d8e, v111
	s_delay_alu instid0(VALU_DEP_4) | instskip(SKIP_2) | instid1(VALU_DEP_4)
	v_dual_sub_f32 v182, v188, v182 :: v_dual_sub_f32 v167, v207, v167
	v_mul_f32_e32 v188, 0xbf7ba420, v83
	v_mul_f32_e32 v196, 0x3ee437d1, v83
	v_dual_sub_f32 v170, v170, v183 :: v_dual_mul_f32 v183, 0x3f3d2fb0, v97
	v_add_f32_e32 v74, v74, v178
	v_mul_f32_e32 v178, 0xbf7ba420, v99
	v_add_f32_e32 v71, v182, v71
	v_mul_f32_e32 v187, 0xbf7ba420, v89
	v_dual_mul_f32 v190, 0xbe8c1d8e, v89 :: v_dual_mul_f32 v181, 0xbe8c1d8e, v98
	s_delay_alu instid0(VALU_DEP_4) | instskip(SKIP_3) | instid1(VALU_DEP_3)
	v_sub_f32_e32 v178, v178, v185
	v_mul_f32_e32 v186, 0x3f6eb680, v97
	v_dual_mul_f32 v185, 0x3ee437d1, v89 :: v_dual_add_f32 v76, v172, v76
	v_dual_mul_f32 v214, 0x3f3d2fb0, v98 :: v_dual_sub_f32 v143, v160, v143
	v_sub_f32_e32 v184, v186, v184
	v_mul_f32_e32 v186, 0xbe8c1d8e, v83
	v_add_f32_e32 v156, v156, v194
	v_add_f32_e32 v157, v157, v206
	;; [unrolled: 1-line block ×4, first 2 shown]
	v_mul_f32_e32 v184, 0x3f6eb680, v83
	v_mul_f32_e32 v83, 0xbf59a7d5, v83
	;; [unrolled: 1-line block ×3, first 2 shown]
	s_delay_alu instid0(VALU_DEP_4) | instskip(SKIP_1) | instid1(VALU_DEP_4)
	v_dual_sub_f32 v144, v205, v144 :: v_dual_add_f32 v71, v178, v71
	v_mul_f32_e32 v207, 0x3dbcf732, v102
	v_dual_add_f32 v83, v174, v83 :: v_dual_mul_f32 v174, 0x3dbcf732, v98
	s_delay_alu instid0(VALU_DEP_3) | instskip(NEXT) | instid1(VALU_DEP_4)
	v_add_f32_e32 v143, v144, v143
	v_dual_add_f32 v71, v171, v71 :: v_dual_add_f32 v182, v193, v182
	v_mul_f32_e32 v193, 0x3f6eb680, v89
	v_mul_f32_e32 v89, 0xbf59a7d5, v89
	v_add_f32_e32 v154, v154, v197
	s_delay_alu instid0(VALU_DEP_4) | instskip(SKIP_1) | instid1(VALU_DEP_4)
	v_dual_add_f32 v71, v170, v71 :: v_dual_sub_f32 v142, v192, v142
	v_sub_f32_e32 v141, v185, v141
	v_sub_f32_e32 v89, v89, v169
	v_dual_mul_f32 v169, 0x3dbcf732, v99 :: v_dual_add_f32 v76, v76, v72
	v_add_f32_e32 v72, v182, v74
	v_add_f32_e32 v156, v156, v13
	;; [unrolled: 1-line block ×3, first 2 shown]
	v_mul_f32_e32 v172, 0xbf59a7d5, v97
	v_add_f32_e32 v74, v83, v76
	v_add_f32_e32 v76, v176, v174
	;; [unrolled: 1-line block ×3, first 2 shown]
	v_mul_f32_e32 v174, 0x3f3d2fb0, v100
	v_dual_mul_f32 v176, 0xbf1a4643, v99 :: v_dual_mul_f32 v157, 0xbf1a4643, v102
	s_delay_alu instid0(VALU_DEP_4) | instskip(SKIP_4) | instid1(VALU_DEP_4)
	v_dual_add_f32 v74, v76, v74 :: v_dual_mul_f32 v143, 0xbf1a4643, v111
	v_sub_f32_e32 v76, v195, v164
	v_mul_f32_e32 v164, 0xbf1a4643, v100
	v_dual_add_f32 v154, v154, v156 :: v_dual_add_f32 v173, v173, v174
	v_mul_f32_e32 v174, 0xbf7ba420, v102
	v_add_f32_e32 v76, v76, v12
	v_mul_f32_e32 v170, 0x3ee437d1, v97
	v_mul_f32_e32 v83, 0xbf7ba420, v97
	s_delay_alu instid0(VALU_DEP_4) | instskip(NEXT) | instid1(VALU_DEP_4)
	v_dual_mul_f32 v195, 0xbe8c1d8e, v99 :: v_dual_add_f32 v174, v175, v174
	v_add_f32_e32 v76, v167, v76
	v_sub_f32_e32 v167, v179, v168
	v_mul_f32_e32 v175, 0x3f6eb680, v99
	v_mul_f32_e32 v179, 0xbf59a7d5, v99
	;; [unrolled: 1-line block ×3, first 2 shown]
	s_delay_alu instid0(VALU_DEP_4)
	v_dual_mul_f32 v171, 0xbf59a7d5, v98 :: v_dual_add_f32 v76, v167, v76
	v_mul_f32_e32 v167, 0x3ee437d1, v112
	v_mul_f32_e32 v178, 0xbe8c1d8e, v97
	;; [unrolled: 1-line block ×3, first 2 shown]
	v_dual_mul_f32 v182, 0x3ee437d1, v98 :: v_dual_add_f32 v153, v153, v196
	v_add_f32_e32 v76, v89, v76
	v_dual_mul_f32 v98, 0xbf7ba420, v98 :: v_dual_mul_f32 v197, 0xbf7ba420, v112
	s_delay_alu instid0(VALU_DEP_4)
	v_sub_f32_e32 v97, v97, v165
	v_add_f32_e32 v167, v177, v167
	v_mul_f32_e32 v177, 0xbf59a7d5, v101
	v_mul_f32_e32 v194, 0x3ee437d1, v101
	;; [unrolled: 1-line block ×3, first 2 shown]
	v_dual_add_f32 v76, v97, v76 :: v_dual_sub_f32 v97, v99, v166
	v_mul_f32_e32 v99, 0xbf1a4643, v101
	v_mul_f32_e32 v160, 0x3f6eb680, v101
	v_dual_mul_f32 v101, 0xbf7ba420, v101 :: v_dual_add_f32 v74, v173, v74
	v_add_f32_e32 v153, v153, v154
	v_dual_add_f32 v98, v152, v98 :: v_dual_sub_f32 v107, v149, v107
	v_add_f32_e32 v76, v97, v76
	s_delay_alu instid0(VALU_DEP_4)
	v_sub_f32_e32 v97, v101, v163
	v_mul_f32_e32 v173, 0xbe8c1d8e, v100
	v_dual_mul_f32 v168, 0x3f6eb680, v100 :: v_dual_sub_f32 v83, v83, v147
	v_mul_f32_e32 v165, 0x3ee437d1, v102
	v_mul_f32_e32 v166, 0xbf7ba420, v111
	;; [unrolled: 1-line block ×5, first 2 shown]
	v_dual_mul_f32 v111, 0x3ee437d1, v111 :: v_dual_add_f32 v74, v174, v74
	v_add_f32_e32 v107, v107, v12
	v_add_f32_e32 v101, v141, v142
	v_dual_add_f32 v141, v97, v76 :: v_dual_add_f32 v76, v132, v159
	v_add_f32_e32 v57, v57, v148
	v_sub_f32_e32 v108, v201, v108
	v_add_f32_e32 v98, v98, v153
	v_mul_f32_e32 v174, 0xbf59a7d5, v100
	v_dual_mul_f32 v100, 0x3dbcf732, v100 :: v_dual_add_f32 v83, v83, v101
	v_dual_add_f32 v76, v76, v13 :: v_dual_add_f32 v101, v133, v204
	v_add_f32_e32 v14, v14, v12
	s_delay_alu instid0(VALU_DEP_3) | instskip(SKIP_1) | instid1(VALU_DEP_4)
	v_dual_add_f32 v100, v155, v100 :: v_dual_mul_f32 v89, 0xbf59a7d5, v102
	v_mul_f32_e32 v102, 0x3f6eb680, v102
	v_dual_add_f32 v76, v101, v76 :: v_dual_add_f32 v101, v134, v191
	s_delay_alu instid0(VALU_DEP_3) | instskip(SKIP_1) | instid1(VALU_DEP_3)
	v_dual_add_f32 v97, v100, v98 :: v_dual_sub_f32 v100, v169, v145
	v_dual_sub_f32 v103, v190, v103 :: v_dual_add_f32 v14, v36, v14
	v_dual_add_f32 v76, v101, v76 :: v_dual_sub_f32 v81, v199, v81
	s_delay_alu instid0(VALU_DEP_3)
	v_add_f32_e32 v83, v100, v83
	v_dual_sub_f32 v101, v203, v124 :: v_dual_sub_f32 v100, v160, v146
	v_dual_add_f32 v57, v57, v13 :: v_dual_add_f32 v94, v94, v200
	v_add_f32_e32 v14, v38, v14
	v_add_f32_e32 v98, v158, v102
	v_sub_f32_e32 v102, v111, v162
	v_sub_f32_e32 v111, v151, v123
	s_delay_alu instid0(VALU_DEP_4) | instskip(SKIP_3) | instid1(VALU_DEP_4)
	v_dual_add_f32 v57, v94, v57 :: v_dual_add_f32 v32, v32, v14
	v_mul_f32_e32 v192, 0xbf59a7d5, v112
	v_dual_mul_f32 v152, 0x3f3d2fb0, v112 :: v_dual_add_f32 v83, v100, v83
	v_add_f32_e32 v92, v92, v211
	v_add_f32_e32 v32, v34, v32
	;; [unrolled: 1-line block ×3, first 2 shown]
	v_sub_f32_e32 v111, v143, v140
	v_mul_f32_e32 v196, 0x3f6eb680, v112
	v_dual_mul_f32 v112, 0xbf1a4643, v112 :: v_dual_sub_f32 v99, v99, v127
	v_dual_add_f32 v32, v40, v32 :: v_dual_add_f32 v97, v98, v97
	v_sub_f32_e32 v54, v139, v54
	s_delay_alu instid0(VALU_DEP_3) | instskip(NEXT) | instid1(VALU_DEP_3)
	v_dual_add_f32 v98, v161, v112 :: v_dual_add_f32 v57, v92, v57
	v_add_f32_e32 v32, v42, v32
	v_add_f32_e32 v100, v101, v100
	v_sub_f32_e32 v101, v213, v121
	s_delay_alu instid0(VALU_DEP_4) | instskip(NEXT) | instid1(VALU_DEP_4)
	v_dual_add_f32 v98, v98, v97 :: v_dual_add_f32 v97, v131, v184
	v_add_f32_e32 v28, v28, v32
	v_add_f32_e32 v92, v93, v188
	;; [unrolled: 1-line block ×5, first 2 shown]
	s_delay_alu instid0(VALU_DEP_4) | instskip(SKIP_1) | instid1(VALU_DEP_4)
	v_dual_add_f32 v28, v30, v28 :: v_dual_add_f32 v57, v92, v57
	v_dual_add_f32 v76, v97, v76 :: v_dual_add_f32 v97, v128, v182
	v_add_f32_e32 v54, v81, v54
	s_delay_alu instid0(VALU_DEP_3) | instskip(SKIP_3) | instid1(VALU_DEP_4)
	v_dual_add_f32 v24, v24, v28 :: v_dual_sub_f32 v81, v210, v82
	v_dual_sub_f32 v93, v206, v106 :: v_dual_add_f32 v100, v101, v100
	v_add_f32_e32 v15, v15, v13
	v_add_f32_e32 v92, v95, v171
	;; [unrolled: 1-line block ×5, first 2 shown]
	v_dual_add_f32 v76, v97, v76 :: v_dual_add_f32 v97, v130, v174
	v_add_f32_e32 v57, v92, v57
	v_dual_add_f32 v92, v96, v173 :: v_dual_add_f32 v15, v37, v15
	v_add_f32_e32 v20, v20, v24
	v_add_f32_e32 v24, v63, v89
	;; [unrolled: 1-line block ×3, first 2 shown]
	v_sub_f32_e32 v81, v187, v90
	v_dual_sub_f32 v101, v193, v122 :: v_dual_add_f32 v112, v114, v112
	v_add_f32_e32 v57, v92, v57
	v_add_f32_e32 v78, v78, v165
	;; [unrolled: 1-line block ×3, first 2 shown]
	v_dual_add_f32 v54, v81, v54 :: v_dual_sub_f32 v81, v172, v91
	v_dual_add_f32 v76, v97, v76 :: v_dual_add_f32 v15, v39, v15
	v_add_f32_e32 v20, v22, v20
	v_add_f32_e32 v37, v78, v57
	;; [unrolled: 1-line block ×5, first 2 shown]
	v_dual_add_f32 v100, v101, v100 :: v_dual_sub_f32 v101, v170, v125
	v_add_f32_e32 v16, v16, v20
	s_delay_alu instid0(VALU_DEP_3)
	v_dual_sub_f32 v20, v166, v66 :: v_dual_add_f32 v15, v35, v15
	v_sub_f32_e32 v36, v195, v73
	v_add_f32_e32 v115, v135, v157
	v_dual_add_f32 v97, v111, v83 :: v_dual_add_f32 v114, v117, v186
	v_add_f32_e32 v57, v84, v196
	v_dual_add_f32 v83, v101, v100 :: v_dual_sub_f32 v38, v194, v75
	v_sub_f32_e32 v34, v156, v77
	v_add_f32_e32 v36, v36, v54
	v_dual_sub_f32 v100, v179, v126 :: v_dual_add_f32 v101, v114, v112
	v_add_f32_e32 v111, v118, v214
	v_add_f32_e32 v15, v41, v15
	s_delay_alu instid0(VALU_DEP_4) | instskip(NEXT) | instid1(VALU_DEP_4)
	v_add_f32_e32 v33, v38, v36
	v_add_f32_e32 v83, v100, v83
	;; [unrolled: 1-line block ×5, first 2 shown]
	v_dual_add_f32 v100, v111, v101 :: v_dual_sub_f32 v35, v137, v48
	v_add_f32_e32 v101, v113, v168
	s_delay_alu instid0(VALU_DEP_4) | instskip(NEXT) | instid1(VALU_DEP_4)
	v_add_f32_e32 v13, v36, v13
	v_dual_add_f32 v76, v112, v76 :: v_dual_add_f32 v15, v43, v15
	v_add_f32_e32 v74, v167, v74
	v_add_f32_e32 v99, v99, v83
	;; [unrolled: 1-line block ×6, first 2 shown]
	v_sub_f32_e32 v35, v79, v50
	v_add_f32_e32 v101, v108, v107
	v_add_f32_e32 v13, v36, v13
	v_sub_f32_e32 v107, v198, v109
	v_dual_sub_f32 v108, v154, v129 :: v_dual_add_f32 v15, v29, v15
	v_add_f32_e32 v83, v100, v83
	s_delay_alu instid0(VALU_DEP_3) | instskip(NEXT) | instid1(VALU_DEP_3)
	v_dual_add_f32 v100, v120, v192 :: v_dual_add_f32 v101, v107, v101
	v_dual_add_f32 v36, v53, v209 :: v_dual_add_f32 v15, v31, v15
	v_sub_f32_e32 v90, v144, v110
	s_delay_alu instid0(VALU_DEP_3)
	v_dual_add_f32 v83, v100, v83 :: v_dual_add_f32 v100, v103, v101
	v_sub_f32_e32 v101, v183, v104
	v_add_f32_e32 v12, v35, v12
	v_sub_f32_e32 v29, v208, v52
	v_add_f32_e32 v13, v36, v13
	v_add_f32_e32 v15, v25, v15
	v_dual_add_f32 v25, v59, v181 :: v_dual_sub_f32 v28, v178, v58
	s_delay_alu instid0(VALU_DEP_4) | instskip(SKIP_1) | instid1(VALU_DEP_4)
	v_add_f32_e32 v12, v29, v12
	v_sub_f32_e32 v29, v189, v55
	v_dual_add_f32 v94, v101, v100 :: v_dual_add_f32 v15, v27, v15
	v_sub_f32_e32 v100, v175, v105
	s_delay_alu instid0(VALU_DEP_3) | instskip(NEXT) | instid1(VALU_DEP_3)
	v_dual_add_f32 v13, v32, v13 :: v_dual_add_f32 v12, v29, v12
	v_dual_add_f32 v18, v18, v16 :: v_dual_add_f32 v15, v21, v15
	v_sub_f32_e32 v21, v176, v60
	s_delay_alu instid0(VALU_DEP_3) | instskip(SKIP_1) | instid1(VALU_DEP_4)
	v_add_f32_e32 v13, v25, v13
	v_dual_add_f32 v25, v61, v164 :: v_dual_add_f32 v82, v100, v94
	v_dual_add_f32 v12, v28, v12 :: v_dual_add_f32 v15, v23, v15
	s_delay_alu instid0(VALU_DEP_2) | instskip(NEXT) | instid1(VALU_DEP_3)
	v_dual_add_f32 v8, v8, v18 :: v_dual_add_f32 v13, v25, v13
	v_add_f32_e32 v82, v93, v82
	s_delay_alu instid0(VALU_DEP_3) | instskip(SKIP_4) | instid1(VALU_DEP_3)
	v_add_f32_e32 v12, v21, v12
	v_sub_f32_e32 v21, v177, v62
	v_add_f32_e32 v15, v17, v15
	v_add_f32_e32 v17, v67, v197
	v_dual_add_f32 v13, v24, v13 :: v_dual_add_f32 v82, v90, v82
	v_dual_add_f32 v12, v21, v12 :: v_dual_add_f32 v19, v19, v15
	s_delay_alu instid0(VALU_DEP_2) | instskip(NEXT) | instid1(VALU_DEP_2)
	v_dual_add_f32 v16, v17, v13 :: v_dual_and_b32 v21, 0xffff, v88
	v_dual_add_f32 v14, v57, v37 :: v_dual_add_f32 v15, v20, v12
	s_delay_alu instid0(VALU_DEP_2)
	v_dual_add_f32 v9, v9, v19 :: v_dual_lshlrev_b32 v12, 3, v21
	v_add_f32_e32 v13, v34, v33
	v_add_f32_e32 v75, v108, v99
	;; [unrolled: 1-line block ×3, first 2 shown]
	ds_store_2addr_b64 v12, v[8:9], v[15:16] offset1:1
	ds_store_2addr_b64 v12, v[13:14], v[82:83] offset0:2 offset1:3
	ds_store_2addr_b64 v12, v[75:76], v[97:98] offset0:4 offset1:5
	;; [unrolled: 1-line block ×7, first 2 shown]
	ds_store_b64 v12, v[69:70] offset:128
.LBB0_7:
	s_wait_alu 0xfffe
	s_or_b32 exec_lo, exec_lo, s0
	v_and_b32_e32 v8, 0xff, v87
	s_load_b128 s[4:7], s[2:3], 0x0
	global_wb scope:SCOPE_SE
	s_wait_dscnt 0x0
	s_wait_kmcnt 0x0
	s_barrier_signal -1
	s_barrier_wait -1
	v_mul_lo_u16 v8, 0xf1, v8
	global_inv scope:SCOPE_SE
	v_cmp_gt_u16_e64 s0, 0x88, v87
	v_lshrrev_b16 v36, 12, v8
	s_delay_alu instid0(VALU_DEP_1) | instskip(NEXT) | instid1(VALU_DEP_1)
	v_mul_lo_u16 v8, v36, 17
	v_sub_nc_u16 v8, v87, v8
	s_delay_alu instid0(VALU_DEP_1) | instskip(NEXT) | instid1(VALU_DEP_1)
	v_and_b32_e32 v40, 0xff, v8
	v_mad_co_u64_u32 v[8:9], null, v40, 56, s[8:9]
	s_clause 0x3
	global_load_b128 v[24:27], v[8:9], off
	global_load_b128 v[20:23], v[8:9], off offset:16
	global_load_b128 v[12:15], v[8:9], off offset:32
	global_load_b64 v[71:72], v[8:9], off offset:48
	ds_load_2addr_b64 v[16:19], v86 offset1:187
	v_add_nc_u32_e32 v9, 0x1600, v86
	v_add_nc_u32_e32 v8, 0xa00, v86
	ds_load_2addr_b64 v[32:35], v9 offset0:44 offset1:231
	ds_load_2addr_b64 v[28:31], v8 offset0:54 offset1:241
	v_add_nc_u32_e32 v8, 0x2200, v86
	v_and_b32_e32 v9, 0xffff, v36
	s_wait_loadcnt_dscnt 0x300
	v_mul_f32_e32 v41, v28, v27
	s_wait_loadcnt 0x2
	v_mul_f32_e32 v49, v32, v23
	ds_load_2addr_b64 v[36:39], v8 offset0:34 offset1:221
	v_mul_u32_u24_e32 v8, 0x88, v9
	v_mul_f32_e32 v9, v18, v25
	v_mul_f32_e32 v42, v31, v21
	s_wait_loadcnt 0x1
	v_dual_mul_f32 v48, v33, v23 :: v_dual_mul_f32 v51, v34, v13
	v_add_lshl_u32 v89, v8, v40, 3
	v_mul_f32_e32 v8, v19, v25
	v_dual_mul_f32 v40, v29, v27 :: v_dual_mul_f32 v43, v30, v21
	v_mul_f32_e32 v50, v35, v13
	global_wb scope:SCOPE_SE
	s_wait_loadcnt_dscnt 0x0
	v_fma_f32 v8, v18, v24, -v8
	v_fma_f32 v18, v28, v26, -v40
	;; [unrolled: 1-line block ×3, first 2 shown]
	v_fmac_f32_e32 v49, v33, v22
	s_barrier_signal -1
	s_barrier_wait -1
	global_inv scope:SCOPE_SE
	v_sub_f32_e32 v28, v16, v28
	v_dual_mul_f32 v52, v37, v15 :: v_dual_fmac_f32 v9, v19, v24
	v_mul_f32_e32 v53, v36, v15
	v_mul_f32_e32 v55, v38, v72
	v_fma_f32 v19, v30, v20, -v42
	s_delay_alu instid0(VALU_DEP_4) | instskip(SKIP_3) | instid1(VALU_DEP_4)
	v_fma_f32 v30, v36, v14, -v52
	v_dual_mul_f32 v54, v39, v72 :: v_dual_fmac_f32 v41, v29, v26
	v_dual_fmac_f32 v43, v31, v20 :: v_dual_sub_f32 v32, v17, v49
	v_fma_f32 v29, v34, v12, -v50
	v_dual_fmac_f32 v51, v35, v12 :: v_dual_sub_f32 v30, v18, v30
	v_fmac_f32_e32 v55, v39, v71
	v_fma_f32 v31, v38, v71, -v54
	s_delay_alu instid0(VALU_DEP_3)
	v_dual_sub_f32 v29, v8, v29 :: v_dual_sub_f32 v34, v9, v51
	v_fma_f32 v16, v16, 2.0, -v28
	v_fma_f32 v17, v17, 2.0, -v32
	;; [unrolled: 1-line block ×3, first 2 shown]
	v_dual_add_f32 v30, v32, v30 :: v_dual_sub_f32 v35, v43, v55
	v_sub_f32_e32 v31, v19, v31
	v_fma_f32 v9, v9, 2.0, -v34
	s_delay_alu instid0(VALU_DEP_4)
	v_sub_f32_e32 v18, v16, v18
	v_fmac_f32_e32 v53, v37, v14
	v_fma_f32 v37, v43, 2.0, -v35
	v_fma_f32 v8, v8, 2.0, -v29
	;; [unrolled: 1-line block ×3, first 2 shown]
	v_add_f32_e32 v31, v34, v31
	v_fma_f32 v16, v16, 2.0, -v18
	v_sub_f32_e32 v37, v9, v37
	v_fma_f32 v32, v32, 2.0, -v30
	s_delay_alu instid0(VALU_DEP_2) | instskip(SKIP_1) | instid1(VALU_DEP_2)
	v_dual_sub_f32 v19, v8, v19 :: v_dual_sub_f32 v52, v18, v37
	v_sub_f32_e32 v33, v41, v53
	v_fma_f32 v8, v8, 2.0, -v19
	v_fma_f32 v9, v9, 2.0, -v37
	s_delay_alu instid0(VALU_DEP_4) | instskip(NEXT) | instid1(VALU_DEP_4)
	v_fma_f32 v60, v18, 2.0, -v52
	v_fma_f32 v36, v41, 2.0, -v33
	s_delay_alu instid0(VALU_DEP_4) | instskip(NEXT) | instid1(VALU_DEP_2)
	v_sub_f32_e32 v56, v16, v8
	v_sub_f32_e32 v36, v17, v36
	;; [unrolled: 1-line block ×3, first 2 shown]
	s_delay_alu instid0(VALU_DEP_3) | instskip(NEXT) | instid1(VALU_DEP_3)
	v_fma_f32 v48, v16, 2.0, -v56
	v_fma_f32 v17, v17, 2.0, -v36
	s_delay_alu instid0(VALU_DEP_3) | instskip(SKIP_1) | instid1(VALU_DEP_3)
	v_fma_f32 v29, v29, 2.0, -v35
	v_sub_f32_e32 v33, v28, v33
	v_sub_f32_e32 v57, v17, v9
	s_delay_alu instid0(VALU_DEP_2) | instskip(NEXT) | instid1(VALU_DEP_2)
	v_fma_f32 v28, v28, 2.0, -v33
	v_fma_f32 v49, v17, 2.0, -v57
	s_delay_alu instid0(VALU_DEP_2) | instskip(SKIP_3) | instid1(VALU_DEP_3)
	v_fmamk_f32 v58, v29, 0xbf3504f3, v28
	v_fmamk_f32 v54, v35, 0x3f3504f3, v33
	v_fma_f32 v34, v34, 2.0, -v31
	v_fmamk_f32 v55, v31, 0x3f3504f3, v30
	v_fmac_f32_e32 v54, 0xbf3504f3, v31
	s_delay_alu instid0(VALU_DEP_3) | instskip(NEXT) | instid1(VALU_DEP_3)
	v_fmamk_f32 v59, v34, 0xbf3504f3, v32
	v_fmac_f32_e32 v55, 0x3f3504f3, v35
	v_dual_fmac_f32 v58, 0xbf3504f3, v34 :: v_dual_add_f32 v53, v36, v19
	s_delay_alu instid0(VALU_DEP_4) | instskip(NEXT) | instid1(VALU_DEP_4)
	v_fma_f32 v62, v33, 2.0, -v54
	v_fmac_f32_e32 v59, 0x3f3504f3, v29
	s_delay_alu instid0(VALU_DEP_4) | instskip(NEXT) | instid1(VALU_DEP_4)
	v_fma_f32 v63, v30, 2.0, -v55
	v_fma_f32 v50, v28, 2.0, -v58
	;; [unrolled: 1-line block ×3, first 2 shown]
	s_delay_alu instid0(VALU_DEP_4)
	v_fma_f32 v51, v32, 2.0, -v59
	ds_store_2addr_b64 v89, v[52:53], v[54:55] offset0:102 offset1:119
	ds_store_2addr_b64 v89, v[60:61], v[62:63] offset0:34 offset1:51
	;; [unrolled: 1-line block ×3, first 2 shown]
	ds_store_2addr_b64 v89, v[48:49], v[50:51] offset1:17
	global_wb scope:SCOPE_SE
	s_wait_dscnt 0x0
	s_barrier_signal -1
	s_barrier_wait -1
	global_inv scope:SCOPE_SE
	s_and_saveexec_b32 s1, s0
	s_cbranch_execz .LBB0_9
; %bb.8:
	v_add_nc_u32_e32 v8, 0x800, v86
	v_add_nc_u32_e32 v9, 0x1000, v86
	;; [unrolled: 1-line block ×4, first 2 shown]
	ds_load_2addr_b64 v[48:51], v86 offset1:136
	ds_load_2addr_b64 v[60:63], v8 offset0:16 offset1:152
	ds_load_2addr_b64 v[56:59], v9 offset0:32 offset1:168
	;; [unrolled: 1-line block ×4, first 2 shown]
	ds_load_b64 v[64:65], v86 offset:10880
.LBB0_9:
	s_wait_alu 0xfffe
	s_or_b32 exec_lo, exec_lo, s1
	v_add_nc_u32_e32 v8, 0xffffff78, v87
	s_delay_alu instid0(VALU_DEP_1) | instskip(NEXT) | instid1(VALU_DEP_1)
	v_cndmask_b32_e64 v8, v8, v87, s0
	v_mul_i32_i24_e32 v9, 0x50, v8
	v_mul_hi_i32_i24_e32 v16, 0x50, v8
	s_delay_alu instid0(VALU_DEP_2) | instskip(SKIP_1) | instid1(VALU_DEP_2)
	v_add_co_u32 v8, s1, s8, v9
	s_wait_alu 0xf1ff
	v_add_co_ci_u32_e64 v9, s1, s9, v16, s1
	s_clause 0x4
	global_load_b128 v[36:39], v[8:9], off offset:952
	global_load_b128 v[28:31], v[8:9], off offset:968
	;; [unrolled: 1-line block ×5, first 2 shown]
	s_wait_loadcnt_dscnt 0x405
	v_mul_f32_e32 v75, v51, v37
	s_wait_dscnt 0x4
	v_dual_mul_f32 v76, v50, v37 :: v_dual_mul_f32 v77, v61, v39
	s_wait_loadcnt_dscnt 0x101
	v_dual_mul_f32 v90, v55, v33 :: v_dual_mul_f32 v91, v45, v35
	s_wait_loadcnt 0x0
	v_dual_mul_f32 v8, v44, v35 :: v_dual_mul_f32 v73, v46, v41
	s_wait_dscnt 0x0
	v_dual_mul_f32 v92, v47, v41 :: v_dual_mul_f32 v93, v65, v43
	v_dual_mul_f32 v78, v60, v39 :: v_dual_mul_f32 v79, v63, v29
	;; [unrolled: 1-line block ×4, first 2 shown]
	v_mul_f32_e32 v74, v64, v43
	v_fma_f32 v75, v50, v36, -v75
	v_fma_f32 v60, v60, v38, -v77
	s_delay_alu instid0(VALU_DEP_4)
	v_fmac_f32_e32 v67, v59, v16
	v_fma_f32 v50, v44, v34, -v91
	v_fma_f32 v44, v64, v42, -v93
	v_fmac_f32_e32 v8, v45, v34
	v_fma_f32 v45, v46, v40, -v92
	v_dual_mul_f32 v82, v56, v31 :: v_dual_mul_f32 v83, v59, v17
	v_dual_mul_f32 v66, v52, v19 :: v_dual_mul_f32 v9, v54, v33
	s_delay_alu instid0(VALU_DEP_3) | instskip(SKIP_2) | instid1(VALU_DEP_4)
	v_dual_fmac_f32 v76, v51, v36 :: v_dual_add_f32 v59, v60, v45
	v_dual_fmac_f32 v80, v63, v28 :: v_dual_sub_f32 v63, v60, v45
	v_fmac_f32_e32 v74, v65, v42
	v_dual_fmac_f32 v78, v61, v38 :: v_dual_fmac_f32 v9, v55, v32
	v_fma_f32 v61, v62, v28, -v79
	v_fma_f32 v56, v56, v30, -v81
	v_dual_fmac_f32 v82, v57, v30 :: v_dual_fmac_f32 v73, v47, v40
	v_fma_f32 v57, v58, v16, -v83
	v_fma_f32 v52, v52, v18, -v84
	v_dual_fmac_f32 v66, v53, v18 :: v_dual_add_f32 v53, v75, v44
	v_fma_f32 v51, v54, v32, -v90
	v_dual_add_f32 v46, v48, v75 :: v_dual_add_f32 v47, v49, v76
	v_sub_f32_e32 v55, v75, v44
	v_add_f32_e32 v75, v80, v8
	v_sub_f32_e32 v58, v76, v74
	v_dual_add_f32 v54, v76, v74 :: v_dual_add_f32 v81, v82, v9
	v_dual_add_f32 v62, v78, v73 :: v_dual_add_f32 v65, v61, v50
	v_dual_sub_f32 v64, v78, v73 :: v_dual_sub_f32 v77, v80, v8
	v_dual_sub_f32 v76, v61, v50 :: v_dual_add_f32 v79, v56, v51
	v_dual_sub_f32 v83, v56, v51 :: v_dual_sub_f32 v84, v82, v9
	v_dual_sub_f32 v92, v57, v52 :: v_dual_sub_f32 v93, v67, v66
	v_dual_add_f32 v46, v46, v60 :: v_dual_add_f32 v47, v47, v78
	v_mul_f32_e32 v78, 0xbf0a6770, v55
	v_mul_f32_e32 v95, 0xbf68dda4, v55
	v_dual_mul_f32 v60, 0xbf0a6770, v58 :: v_dual_mul_f32 v115, 0xbf0a6770, v76
	v_dual_mul_f32 v94, 0xbf68dda4, v58 :: v_dual_mul_f32 v101, 0xbf68dda4, v63
	;; [unrolled: 1-line block ×3, first 2 shown]
	v_dual_add_f32 v90, v57, v52 :: v_dual_add_f32 v91, v67, v66
	v_dual_mul_f32 v98, 0xbf4178ce, v58 :: v_dual_mul_f32 v99, 0xbf4178ce, v55
	v_dual_mul_f32 v58, 0xbe903f40, v58 :: v_dual_mul_f32 v55, 0xbe903f40, v55
	;; [unrolled: 1-line block ×5, first 2 shown]
	v_mul_f32_e32 v63, 0x3f0a6770, v63
	v_dual_mul_f32 v108, 0xbf7d64f0, v77 :: v_dual_mul_f32 v109, 0xbf7d64f0, v76
	v_dual_mul_f32 v110, 0x3e903f40, v77 :: v_dual_mul_f32 v111, 0x3e903f40, v76
	;; [unrolled: 1-line block ×8, first 2 shown]
	v_mul_f32_e32 v83, 0x3f68dda4, v83
	v_dual_mul_f32 v124, 0xbe903f40, v93 :: v_dual_mul_f32 v125, 0xbe903f40, v92
	v_dual_mul_f32 v126, 0x3f0a6770, v93 :: v_dual_mul_f32 v127, 0x3f0a6770, v92
	;; [unrolled: 1-line block ×5, first 2 shown]
	v_dual_add_f32 v46, v46, v61 :: v_dual_add_f32 v47, v47, v80
	v_mul_f32_e32 v100, 0xbf68dda4, v64
	v_mul_f32_e32 v64, 0x3f0a6770, v64
	v_fma_f32 v61, 0x3f575c64, v53, -v60
	v_dual_fmamk_f32 v80, v54, 0x3f575c64, v78 :: v_dual_fmamk_f32 v153, v75, 0x3f575c64, v115
	v_dual_fmac_f32 v60, 0x3f575c64, v53 :: v_dual_fmamk_f32 v147, v62, 0x3f575c64, v63
	v_fma_f32 v78, 0x3f575c64, v54, -v78
	v_fma_f32 v132, 0x3ed4b147, v53, -v94
	v_dual_fmamk_f32 v133, v54, 0x3ed4b147, v95 :: v_dual_fmac_f32 v94, 0x3ed4b147, v53
	v_mul_f32_e32 v120, 0xbf0a6770, v84
	v_mul_f32_e32 v84, 0x3f68dda4, v84
	v_fma_f32 v134, 0xbe11bafb, v53, -v96
	v_fma_f32 v95, 0x3ed4b147, v54, -v95
	v_dual_fmamk_f32 v135, v54, 0xbe11bafb, v97 :: v_dual_fmac_f32 v96, 0xbe11bafb, v53
	v_fma_f32 v97, 0xbe11bafb, v54, -v97
	v_fma_f32 v136, 0xbf27a4f4, v53, -v98
	v_dual_fmamk_f32 v137, v54, 0xbf27a4f4, v99 :: v_dual_fmac_f32 v98, 0xbf27a4f4, v53
	;; [unrolled: 3-line block ×6, first 2 shown]
	v_fma_f32 v107, 0xbe11bafb, v62, -v107
	v_fma_f32 v146, 0x3f575c64, v59, -v64
	v_dual_fmac_f32 v64, 0x3f575c64, v59 :: v_dual_fmamk_f32 v159, v81, 0x3f575c64, v121
	v_fma_f32 v148, 0xbf75a155, v65, -v110
	v_dual_fmamk_f32 v149, v75, 0xbf75a155, v111 :: v_dual_fmac_f32 v110, 0xbf75a155, v65
	v_fma_f32 v111, 0xbf75a155, v75, -v111
	v_fma_f32 v150, 0x3ed4b147, v65, -v112
	v_dual_fmamk_f32 v151, v75, 0x3ed4b147, v113 :: v_dual_fmac_f32 v112, 0x3ed4b147, v65
	v_fma_f32 v113, 0x3ed4b147, v75, -v113
	v_fma_f32 v152, 0x3f575c64, v65, -v114
	v_dual_fmac_f32 v114, 0x3f575c64, v65 :: v_dual_fmamk_f32 v165, v91, 0x3f575c64, v127
	v_fma_f32 v115, 0x3f575c64, v75, -v115
	v_fma_f32 v154, 0xbf27a4f4, v65, -v77
	v_fmamk_f32 v155, v75, 0xbf27a4f4, v76
	v_fmac_f32_e32 v77, 0xbf27a4f4, v65
	v_fma_f32 v156, 0xbe11bafb, v79, -v118
	v_dual_fmamk_f32 v157, v81, 0xbe11bafb, v119 :: v_dual_fmac_f32 v118, 0xbe11bafb, v79
	v_fma_f32 v119, 0xbe11bafb, v81, -v119
	v_fma_f32 v158, 0x3f575c64, v79, -v120
	v_fmac_f32_e32 v120, 0x3f575c64, v79
	v_fma_f32 v121, 0x3f575c64, v81, -v121
	v_fma_f32 v160, 0xbf75a155, v79, -v122
	v_dual_fmamk_f32 v161, v81, 0xbf75a155, v123 :: v_dual_fmac_f32 v122, 0xbf75a155, v79
	v_fma_f32 v123, 0xbf75a155, v81, -v123
	v_fma_f32 v162, 0x3ed4b147, v79, -v84
	v_dual_fmamk_f32 v163, v81, 0x3ed4b147, v83 :: v_dual_fmac_f32 v84, 0x3ed4b147, v79
	v_fma_f32 v164, 0x3f575c64, v90, -v126
	v_fmac_f32_e32 v126, 0x3f575c64, v90
	v_fma_f32 v127, 0x3f575c64, v91, -v127
	v_fma_f32 v166, 0xbf27a4f4, v90, -v128
	v_dual_fmamk_f32 v167, v91, 0xbf27a4f4, v129 :: v_dual_fmac_f32 v128, 0xbf27a4f4, v90
	v_fma_f32 v129, 0xbf27a4f4, v91, -v129
	v_fma_f32 v168, 0x3ed4b147, v90, -v130
	v_dual_fmamk_f32 v169, v91, 0x3ed4b147, v131 :: v_dual_fmac_f32 v130, 0x3ed4b147, v90
	v_fma_f32 v131, 0x3ed4b147, v91, -v131
	v_fma_f32 v170, 0xbe11bafb, v90, -v93
	v_fmac_f32_e32 v93, 0xbe11bafb, v90
	v_add_f32_e32 v47, v47, v82
	v_fma_f32 v54, 0x3ed4b147, v59, -v100
	v_dual_fmamk_f32 v55, v62, 0x3ed4b147, v101 :: v_dual_fmac_f32 v100, 0x3ed4b147, v59
	v_fma_f32 v101, 0x3ed4b147, v62, -v101
	v_fma_f32 v59, 0x3f575c64, v62, -v63
	;; [unrolled: 1-line block ×3, first 2 shown]
	v_dual_fmamk_f32 v63, v75, 0xbe11bafb, v109 :: v_dual_fmac_f32 v108, 0xbe11bafb, v65
	v_fma_f32 v109, 0xbe11bafb, v75, -v109
	v_fma_f32 v65, 0xbf27a4f4, v75, -v76
	;; [unrolled: 1-line block ×3, first 2 shown]
	v_fmamk_f32 v76, v81, 0xbf27a4f4, v117
	v_fmac_f32_e32 v116, 0xbf27a4f4, v79
	v_fma_f32 v117, 0xbf27a4f4, v81, -v117
	v_fma_f32 v79, 0x3ed4b147, v81, -v83
	v_fma_f32 v81, 0xbf75a155, v90, -v124
	v_dual_fmamk_f32 v83, v91, 0xbf75a155, v125 :: v_dual_fmac_f32 v124, 0xbf75a155, v90
	v_fma_f32 v125, 0xbf75a155, v91, -v125
	v_dual_fmamk_f32 v171, v91, 0xbe11bafb, v92 :: v_dual_add_f32 v46, v46, v56
	v_fma_f32 v90, 0xbe11bafb, v91, -v92
	v_dual_add_f32 v56, v48, v61 :: v_dual_add_f32 v99, v49, v99
	v_add_f32_e32 v61, v49, v80
	v_dual_add_f32 v60, v48, v60 :: v_dual_add_f32 v97, v49, v97
	v_dual_add_f32 v78, v49, v78 :: v_dual_add_f32 v47, v47, v67
	v_add_f32_e32 v91, v48, v94
	v_add_f32_e32 v94, v48, v134
	;; [unrolled: 1-line block ×5, first 2 shown]
	v_dual_add_f32 v95, v49, v135 :: v_dual_add_f32 v96, v48, v96
	v_add_f32_e32 v133, v49, v137
	v_add_f32_e32 v135, v49, v139
	v_dual_add_f32 v49, v49, v53 :: v_dual_add_f32 v132, v48, v136
	v_add_f32_e32 v67, v142, v94
	v_dual_add_f32 v46, v46, v57 :: v_dual_add_f32 v57, v140, v80
	v_dual_add_f32 v53, v54, v56 :: v_dual_add_f32 v54, v55, v61
	;; [unrolled: 1-line block ×5, first 2 shown]
	v_add_f32_e32 v48, v48, v58
	v_add_f32_e32 v58, v141, v82
	v_dual_add_f32 v60, v102, v91 :: v_dual_add_f32 v47, v47, v66
	v_dual_add_f32 v78, v143, v95 :: v_dual_add_f32 v91, v144, v132
	v_add_f32_e32 v80, v104, v96
	v_add_f32_e32 v46, v46, v52
	v_dual_add_f32 v52, v62, v53 :: v_dual_add_f32 v53, v63, v54
	v_dual_add_f32 v54, v108, v55 :: v_dual_add_f32 v55, v109, v56
	v_add_f32_e32 v82, v105, v97
	v_dual_add_f32 v94, v106, v98 :: v_dual_add_f32 v49, v65, v49
	v_dual_add_f32 v92, v145, v133 :: v_dual_add_f32 v95, v107, v99
	;; [unrolled: 1-line block ×3, first 2 shown]
	v_add_f32_e32 v97, v147, v135
	v_dual_add_f32 v59, v111, v61 :: v_dual_add_f32 v48, v64, v48
	v_dual_add_f32 v56, v148, v57 :: v_dual_add_f32 v57, v149, v58
	v_dual_add_f32 v58, v110, v60 :: v_dual_add_f32 v61, v151, v78
	v_dual_add_f32 v63, v113, v82 :: v_dual_add_f32 v46, v46, v51
	v_add_f32_e32 v51, v76, v53
	v_add_f32_e32 v53, v117, v55
	v_dual_add_f32 v60, v150, v67 :: v_dual_add_f32 v55, v157, v57
	v_dual_add_f32 v62, v112, v80 :: v_dual_add_f32 v61, v159, v61
	;; [unrolled: 1-line block ×3, first 2 shown]
	v_add_f32_e32 v78, v115, v95
	v_add_f32_e32 v80, v154, v96
	s_delay_alu instid0(VALU_DEP_3)
	v_dual_add_f32 v82, v155, v97 :: v_dual_add_f32 v67, v122, v67
	v_dual_add_f32 v48, v77, v48 :: v_dual_add_f32 v49, v79, v49
	v_add_f32_e32 v47, v75, v52
	v_add_f32_e32 v75, v121, v63
	v_dual_add_f32 v64, v152, v91 :: v_dual_add_f32 v77, v162, v80
	v_add_f32_e32 v79, v9, v8
	v_dual_add_f32 v9, v125, v53 :: v_dual_add_f32 v50, v46, v50
	v_dual_add_f32 v52, v116, v54 :: v_dual_add_f32 v59, v119, v59
	;; [unrolled: 1-line block ×3, first 2 shown]
	v_add_f32_e32 v58, v118, v58
	v_dual_add_f32 v60, v158, v60 :: v_dual_add_f32 v65, v120, v62
	v_add_f32_e32 v64, v160, v64
	v_dual_add_f32 v76, v123, v78 :: v_dual_add_f32 v45, v50, v45
	v_add_f32_e32 v66, v161, v66
	v_add_f32_e32 v78, v163, v82
	v_add_f32_e32 v48, v84, v48
	v_add_f32_e32 v50, v79, v73
	v_add_f32_e32 v56, v164, v54
	v_add_f32_e32 v53, v169, v66
	v_dual_add_f32 v63, v127, v59 :: v_dual_add_f32 v62, v126, v58
	v_dual_add_f32 v59, v167, v61 :: v_dual_add_f32 v58, v166, v60
	;; [unrolled: 1-line block ×4, first 2 shown]
	v_add_f32_e32 v54, v170, v77
	v_dual_add_f32 v44, v45, v44 :: v_dual_add_f32 v45, v50, v74
	v_dual_add_f32 v65, v90, v49 :: v_dual_add_f32 v46, v81, v47
	v_add_f32_e32 v55, v171, v78
	v_dual_add_f32 v47, v83, v51 :: v_dual_add_f32 v8, v124, v52
	v_add_f32_e32 v52, v168, v64
	v_add_f32_e32 v64, v93, v48
	s_and_saveexec_b32 s1, s0
	s_cbranch_execz .LBB0_11
; %bb.10:
	v_add_nc_u32_e32 v48, 0x800, v86
	v_add_nc_u32_e32 v49, 0x1000, v86
	v_add_nc_u32_e32 v50, 0x1800, v86
	v_add_nc_u32_e32 v51, 0x2000, v86
	ds_store_2addr_b64 v86, v[44:45], v[46:47] offset1:136
	ds_store_2addr_b64 v48, v[56:57], v[58:59] offset0:16 offset1:152
	ds_store_2addr_b64 v49, v[52:53], v[54:55] offset0:32 offset1:168
	;; [unrolled: 1-line block ×4, first 2 shown]
	ds_store_b64 v86, v[8:9] offset:10880
.LBB0_11:
	s_wait_alu 0xfffe
	s_or_b32 exec_lo, exec_lo, s1
	global_wb scope:SCOPE_SE
	s_wait_dscnt 0x0
	s_barrier_signal -1
	s_barrier_wait -1
	global_inv scope:SCOPE_SE
	s_and_saveexec_b32 s1, vcc_lo
	s_cbranch_execz .LBB0_13
; %bb.12:
	global_load_b64 v[48:49], v86, s[12:13] offset:11968
	s_add_nc_u64 s[2:3], s[12:13], 0x2ec0
	s_clause 0xf
	global_load_b64 v[106:107], v86, s[2:3] offset:704
	global_load_b64 v[108:109], v86, s[2:3] offset:1408
	;; [unrolled: 1-line block ×16, first 2 shown]
	ds_load_b64 v[50:51], v86
	v_add_nc_u32_e32 v139, 0x800, v86
	v_add_nc_u32_e32 v140, 0xc00, v86
	;; [unrolled: 1-line block ×3, first 2 shown]
	s_wait_loadcnt_dscnt 0x1000
	v_mul_f32_e32 v73, v51, v49
	v_mul_f32_e32 v74, v50, v49
	s_delay_alu instid0(VALU_DEP_2) | instskip(NEXT) | instid1(VALU_DEP_2)
	v_fma_f32 v73, v50, v48, -v73
	v_fmac_f32_e32 v74, v51, v48
	ds_store_b64 v86, v[73:74]
	ds_load_2addr_b64 v[48:51], v86 offset0:88 offset1:176
	v_add_nc_u32_e32 v142, 0x1800, v86
	ds_load_2addr_b64 v[73:76], v139 offset0:8 offset1:96
	v_add_nc_u32_e32 v143, 0x1c00, v86
	ds_load_2addr_b64 v[77:80], v140 offset0:56 offset1:144
	v_add_nc_u32_e32 v144, 0x2000, v86
	ds_load_2addr_b64 v[81:84], v141 offset0:104 offset1:192
	s_wait_loadcnt_dscnt 0xf03
	v_dual_mul_f32 v138, v48, v107 :: v_dual_add_nc_u32 v145, 0x2800, v86
	s_wait_loadcnt 0xe
	v_dual_mul_f32 v146, v49, v107 :: v_dual_mul_f32 v147, v51, v109
	v_mul_f32_e32 v107, v50, v109
	ds_load_2addr_b64 v[90:93], v142 offset0:24 offset1:112
	ds_load_2addr_b64 v[94:97], v143 offset0:72 offset1:160
	;; [unrolled: 1-line block ×4, first 2 shown]
	s_wait_loadcnt_dscnt 0xc06
	v_dual_mul_f32 v148, v74, v111 :: v_dual_mul_f32 v149, v76, v113
	v_mul_f32_e32 v109, v73, v111
	s_wait_loadcnt_dscnt 0xb05
	v_dual_mul_f32 v111, v75, v113 :: v_dual_mul_f32 v150, v78, v115
	v_mul_f32_e32 v113, v77, v115
	s_wait_loadcnt_dscnt 0x904
	v_dual_mul_f32 v151, v80, v117 :: v_dual_mul_f32 v152, v82, v119
	v_dual_mul_f32 v115, v79, v117 :: v_dual_fmac_f32 v138, v49, v106
	v_mul_f32_e32 v117, v81, v119
	s_wait_loadcnt 0x8
	v_mul_f32_e32 v153, v84, v121
	v_mul_f32_e32 v119, v83, v121
	v_fmac_f32_e32 v107, v51, v108
	v_fmac_f32_e32 v109, v74, v110
	s_wait_loadcnt_dscnt 0x703
	v_dual_fmac_f32 v111, v76, v112 :: v_dual_mul_f32 v154, v91, v123
	v_mul_f32_e32 v121, v90, v123
	s_wait_loadcnt_dscnt 0x502
	v_dual_mul_f32 v155, v93, v125 :: v_dual_mul_f32 v156, v95, v127
	s_wait_loadcnt_dscnt 0x301
	v_dual_mul_f32 v123, v92, v125 :: v_dual_mul_f32 v158, v99, v131
	v_mul_f32_e32 v125, v94, v127
	s_wait_loadcnt_dscnt 0x100
	v_dual_mul_f32 v157, v97, v129 :: v_dual_mul_f32 v160, v103, v135
	v_mul_f32_e32 v127, v96, v129
	v_mul_f32_e32 v129, v98, v131
	;; [unrolled: 1-line block ×5, first 2 shown]
	s_wait_loadcnt 0x0
	v_mul_f32_e32 v161, v105, v137
	v_mul_f32_e32 v135, v104, v137
	v_fma_f32 v137, v48, v106, -v146
	v_fma_f32 v106, v50, v108, -v147
	;; [unrolled: 1-line block ×5, first 2 shown]
	v_fmac_f32_e32 v113, v78, v114
	v_fma_f32 v114, v79, v116, -v151
	v_fmac_f32_e32 v115, v80, v116
	v_fma_f32 v116, v81, v118, -v152
	;; [unrolled: 2-line block ×11, first 2 shown]
	v_fmac_f32_e32 v135, v105, v136
	ds_store_2addr_b64 v86, v[137:138], v[106:107] offset0:88 offset1:176
	ds_store_2addr_b64 v139, v[108:109], v[110:111] offset0:8 offset1:96
	;; [unrolled: 1-line block ×8, first 2 shown]
.LBB0_13:
	s_wait_alu 0xfffe
	s_or_b32 exec_lo, exec_lo, s1
	global_wb scope:SCOPE_SE
	s_wait_dscnt 0x0
	s_barrier_signal -1
	s_barrier_wait -1
	global_inv scope:SCOPE_SE
	s_and_saveexec_b32 s1, vcc_lo
	s_cbranch_execz .LBB0_15
; %bb.14:
	v_add_nc_u32_e32 v0, 0x400, v86
	v_add_nc_u32_e32 v1, 0x800, v86
	;; [unrolled: 1-line block ×3, first 2 shown]
	ds_load_2addr_b64 v[44:47], v86 offset1:88
	v_add_nc_u32_e32 v3, 0x2000, v86
	ds_load_2addr_b64 v[56:59], v0 offset0:48 offset1:136
	ds_load_2addr_b64 v[52:55], v1 offset0:96 offset1:184
	v_add_nc_u32_e32 v0, 0x1400, v86
	v_add_nc_u32_e32 v1, 0x1800, v86
	;; [unrolled: 1-line block ×3, first 2 shown]
	ds_load_2addr_b64 v[64:67], v2 offset0:16 offset1:104
	ds_load_2addr_b64 v[60:63], v0 offset0:64 offset1:152
	;; [unrolled: 1-line block ×5, first 2 shown]
	ds_load_b64 v[69:70], v86 offset:11264
.LBB0_15:
	s_wait_alu 0xfffe
	s_or_b32 exec_lo, exec_lo, s1
	s_wait_dscnt 0x0
	v_dual_sub_f32 v106, v47, v70 :: v_dual_sub_f32 v91, v46, v69
	v_add_f32_e32 v110, v70, v47
	v_dual_sub_f32 v107, v57, v3 :: v_dual_add_f32 v92, v2, v56
	s_delay_alu instid0(VALU_DEP_3) | instskip(NEXT) | instid1(VALU_DEP_3)
	v_dual_mul_f32 v75, 0xbf06c442, v106 :: v_dual_add_f32 v112, v3, v57
	v_mul_f32_e32 v77, 0xbf59a7d5, v110
	v_add_f32_e32 v90, v69, v46
	s_delay_alu instid0(VALU_DEP_4) | instskip(SKIP_1) | instid1(VALU_DEP_4)
	v_dual_mul_f32 v76, 0x3f65296c, v107 :: v_dual_sub_f32 v93, v56, v2
	v_dual_add_f32 v94, v0, v58 :: v_dual_sub_f32 v95, v58, v0
	v_fmamk_f32 v51, v91, 0xbf06c442, v77
	v_mul_f32_e32 v48, 0xbe3c28d5, v106
	v_fma_f32 v50, 0xbf59a7d5, v90, -v75
	v_fma_f32 v80, 0x3ee437d1, v92, -v76
	global_wb scope:SCOPE_SE
	v_add_f32_e32 v51, v45, v51
	v_dual_fmamk_f32 v73, v90, 0xbf7ba420, v48 :: v_dual_add_f32 v50, v44, v50
	v_fma_f32 v48, 0xbf7ba420, v90, -v48
	v_mul_f32_e32 v49, 0xbf7ba420, v110
	v_mul_f32_e32 v79, 0x3eb8f4ab, v107
	s_delay_alu instid0(VALU_DEP_4)
	v_add_f32_e32 v73, v44, v73
	v_add_f32_e32 v50, v80, v50
	;; [unrolled: 1-line block ×3, first 2 shown]
	v_fmamk_f32 v74, v91, 0x3e3c28d5, v49
	v_fmac_f32_e32 v49, 0xbe3c28d5, v91
	v_mul_f32_e32 v78, 0x3ee437d1, v112
	v_dual_mul_f32 v82, 0x3f6eb680, v112 :: v_dual_fmamk_f32 v83, v92, 0x3f6eb680, v79
	s_delay_alu instid0(VALU_DEP_4) | instskip(NEXT) | instid1(VALU_DEP_4)
	v_add_f32_e32 v74, v45, v74
	v_add_f32_e32 v49, v45, v49
	s_delay_alu instid0(VALU_DEP_4) | instskip(SKIP_3) | instid1(VALU_DEP_3)
	v_dual_fmamk_f32 v81, v93, 0x3f65296c, v78 :: v_dual_sub_f32 v108, v59, v1
	v_fma_f32 v79, 0x3f6eb680, v92, -v79
	v_add_f32_e32 v114, v1, v59
	v_dual_fmamk_f32 v80, v93, 0xbeb8f4ab, v82 :: v_dual_add_f32 v73, v83, v73
	v_dual_add_f32 v51, v81, v51 :: v_dual_add_f32 v48, v79, v48
	v_mul_f32_e32 v79, 0xbf7ee86f, v108
	s_delay_alu instid0(VALU_DEP_4) | instskip(NEXT) | instid1(VALU_DEP_4)
	v_mul_f32_e32 v81, 0x3dbcf732, v114
	v_dual_add_f32 v74, v80, v74 :: v_dual_sub_f32 v109, v53, v7
	v_sub_f32_e32 v97, v52, v6
	s_delay_alu instid0(VALU_DEP_4) | instskip(NEXT) | instid1(VALU_DEP_4)
	v_fma_f32 v83, 0x3dbcf732, v94, -v79
	v_fmamk_f32 v96, v95, 0xbf7ee86f, v81
	v_fmac_f32_e32 v82, 0x3eb8f4ab, v93
	v_add_f32_e32 v117, v7, v53
	s_barrier_signal -1
	s_delay_alu instid0(VALU_DEP_3) | instskip(NEXT) | instid1(VALU_DEP_3)
	v_dual_add_f32 v50, v83, v50 :: v_dual_add_f32 v51, v96, v51
	v_dual_mul_f32 v80, 0xbf06c442, v108 :: v_dual_add_f32 v49, v82, v49
	v_dual_add_f32 v96, v6, v52 :: v_dual_sub_f32 v111, v55, v5
	s_barrier_wait -1
	s_delay_alu instid0(VALU_DEP_2)
	v_fmamk_f32 v82, v94, 0xbf59a7d5, v80
	v_mul_f32_e32 v84, 0xbf59a7d5, v114
	v_fma_f32 v80, 0xbf59a7d5, v94, -v80
	global_inv scope:SCOPE_SE
	v_sub_f32_e32 v113, v65, v11
	v_add_f32_e32 v73, v82, v73
	v_dual_fmamk_f32 v83, v95, 0x3f06c442, v84 :: v_dual_add_f32 v48, v80, v48
	v_mul_f32_e32 v82, 0x3f2c7751, v109
	v_fmac_f32_e32 v84, 0xbf06c442, v95
	s_delay_alu instid0(VALU_DEP_3) | instskip(NEXT) | instid1(VALU_DEP_1)
	v_dual_add_f32 v74, v83, v74 :: v_dual_mul_f32 v83, 0xbf1a4643, v117
	v_dual_fmamk_f32 v99, v97, 0x3f4c4adb, v83 :: v_dual_mul_f32 v80, 0x3f4c4adb, v109
	s_delay_alu instid0(VALU_DEP_1) | instskip(SKIP_1) | instid1(VALU_DEP_3)
	v_add_f32_e32 v51, v99, v51
	v_dual_sub_f32 v99, v54, v4 :: v_dual_add_f32 v116, v5, v55
	v_fma_f32 v98, 0xbf1a4643, v96, -v80
	v_add_f32_e32 v49, v84, v49
	v_fmamk_f32 v84, v96, 0x3f3d2fb0, v82
	v_fma_f32 v82, 0x3f3d2fb0, v96, -v82
	v_mul_f32_e32 v122, 0x3f6eb680, v116
	s_delay_alu instid0(VALU_DEP_3) | instskip(NEXT) | instid1(VALU_DEP_2)
	v_dual_add_f32 v50, v98, v50 :: v_dual_add_f32 v73, v84, v73
	v_fmamk_f32 v103, v99, 0xbeb8f4ab, v122
	v_mul_f32_e32 v100, 0x3f3d2fb0, v117
	v_mul_f32_e32 v102, 0xbf1a4643, v116
	s_delay_alu instid0(VALU_DEP_3) | instskip(NEXT) | instid1(VALU_DEP_3)
	v_dual_add_f32 v48, v82, v48 :: v_dual_add_f32 v51, v103, v51
	v_fmamk_f32 v98, v97, 0xbf2c7751, v100
	v_fmac_f32_e32 v100, 0x3f2c7751, v97
	s_delay_alu instid0(VALU_DEP_2) | instskip(NEXT) | instid1(VALU_DEP_2)
	v_dual_mul_f32 v103, 0x3f65296c, v113 :: v_dual_add_f32 v74, v98, v74
	v_add_f32_e32 v49, v100, v49
	v_add_f32_e32 v98, v4, v54
	v_mul_f32_e32 v84, 0xbf4c4adb, v111
	s_delay_alu instid0(VALU_DEP_1) | instskip(NEXT) | instid1(VALU_DEP_1)
	v_fmamk_f32 v100, v98, 0xbf1a4643, v84
	v_dual_mul_f32 v82, 0xbeb8f4ab, v111 :: v_dual_add_f32 v73, v100, v73
	s_delay_alu instid0(VALU_DEP_1) | instskip(NEXT) | instid1(VALU_DEP_1)
	v_fma_f32 v101, 0x3f6eb680, v98, -v82
	v_dual_add_f32 v50, v101, v50 :: v_dual_fmamk_f32 v101, v99, 0x3f4c4adb, v102
	s_delay_alu instid0(VALU_DEP_1) | instskip(SKIP_1) | instid1(VALU_DEP_1)
	v_add_f32_e32 v74, v101, v74
	v_dual_sub_f32 v101, v64, v10 :: v_dual_add_f32 v118, v11, v65
	v_dual_add_f32 v100, v10, v64 :: v_dual_mul_f32 v123, 0xbf7ba420, v118
	s_delay_alu instid0(VALU_DEP_1) | instskip(SKIP_1) | instid1(VALU_DEP_2)
	v_fmamk_f32 v115, v101, 0xbe3c28d5, v123
	v_mul_f32_e32 v105, 0x3ee437d1, v118
	v_add_f32_e32 v51, v115, v51
	v_dual_sub_f32 v115, v67, v9 :: v_dual_fmac_f32 v102, 0xbf4c4adb, v99
	s_delay_alu instid0(VALU_DEP_1) | instskip(NEXT) | instid1(VALU_DEP_2)
	v_mul_f32_e32 v125, 0x3f2c7751, v115
	v_add_f32_e32 v49, v102, v49
	v_fma_f32 v84, 0xbf1a4643, v98, -v84
	v_fmamk_f32 v102, v100, 0x3ee437d1, v103
	v_fma_f32 v103, 0x3ee437d1, v100, -v103
	s_delay_alu instid0(VALU_DEP_3) | instskip(SKIP_1) | instid1(VALU_DEP_2)
	v_add_f32_e32 v48, v84, v48
	v_mul_f32_e32 v84, 0xbe3c28d5, v113
	v_add_f32_e32 v48, v103, v48
	v_dual_sub_f32 v103, v66, v8 :: v_dual_add_f32 v120, v9, v67
	s_delay_alu instid0(VALU_DEP_3) | instskip(NEXT) | instid1(VALU_DEP_2)
	v_fma_f32 v104, 0xbf7ba420, v100, -v84
	v_mul_f32_e32 v124, 0x3f3d2fb0, v120
	s_delay_alu instid0(VALU_DEP_1) | instskip(SKIP_1) | instid1(VALU_DEP_2)
	v_fmamk_f32 v121, v103, 0x3f2c7751, v124
	v_mul_f32_e32 v127, 0xbe8c1d8e, v120
	v_add_f32_e32 v51, v121, v51
	v_dual_add_f32 v73, v102, v73 :: v_dual_add_f32 v50, v104, v50
	v_fmamk_f32 v104, v101, 0xbf65296c, v105
	v_dual_add_f32 v102, v8, v66 :: v_dual_fmac_f32 v105, 0x3f65296c, v101
	s_delay_alu instid0(VALU_DEP_2) | instskip(SKIP_1) | instid1(VALU_DEP_3)
	v_dual_add_f32 v121, v63, v61 :: v_dual_add_f32 v74, v104, v74
	v_mul_f32_e32 v104, 0xbf763a35, v115
	v_fma_f32 v119, 0x3f3d2fb0, v102, -v125
	s_delay_alu instid0(VALU_DEP_4) | instskip(NEXT) | instid1(VALU_DEP_4)
	v_add_f32_e32 v49, v105, v49
	v_mul_f32_e32 v132, 0x3dbcf732, v121
	s_delay_alu instid0(VALU_DEP_3) | instskip(SKIP_1) | instid1(VALU_DEP_1)
	v_dual_add_f32 v50, v119, v50 :: v_dual_sub_f32 v119, v61, v63
	v_fmamk_f32 v105, v102, 0xbe8c1d8e, v104
	v_dual_mul_f32 v129, 0xbf763a35, v119 :: v_dual_add_f32 v128, v105, v73
	v_fma_f32 v73, 0xbe8c1d8e, v102, -v104
	v_dual_add_f32 v104, v62, v60 :: v_dual_sub_f32 v105, v60, v62
	s_delay_alu instid0(VALU_DEP_2) | instskip(NEXT) | instid1(VALU_DEP_2)
	v_add_f32_e32 v131, v73, v48
	v_fma_f32 v48, 0xbe8c1d8e, v104, -v129
	v_fmamk_f32 v126, v103, 0x3f763a35, v127
	v_fmac_f32_e32 v127, 0xbf763a35, v103
	s_delay_alu instid0(VALU_DEP_3) | instskip(NEXT) | instid1(VALU_DEP_3)
	v_add_f32_e32 v73, v48, v50
	v_add_f32_e32 v130, v126, v74
	v_mul_f32_e32 v74, 0x3f7ee86f, v119
	v_fmamk_f32 v50, v105, 0xbf7ee86f, v132
	v_mul_f32_e32 v126, 0xbe8c1d8e, v121
	v_add_f32_e32 v127, v127, v49
	v_fmac_f32_e32 v132, 0x3f7ee86f, v105
	v_fmamk_f32 v49, v104, 0x3dbcf732, v74
	v_fma_f32 v133, 0x3dbcf732, v104, -v74
	v_fmamk_f32 v48, v105, 0xbf763a35, v126
	s_delay_alu instid0(VALU_DEP_1) | instskip(NEXT) | instid1(VALU_DEP_4)
	v_add_f32_e32 v74, v48, v51
	v_dual_add_f32 v48, v49, v128 :: v_dual_add_f32 v49, v50, v130
	s_delay_alu instid0(VALU_DEP_4)
	v_add_f32_e32 v50, v133, v131
	v_add_f32_e32 v51, v132, v127
	s_and_saveexec_b32 s1, vcc_lo
	s_cbranch_execz .LBB0_17
; %bb.16:
	v_mul_f32_e32 v130, 0x3ee437d1, v92
	v_mul_f32_e32 v127, 0xbf06c442, v91
	;; [unrolled: 1-line block ×5, first 2 shown]
	v_add_f32_e32 v76, v130, v76
	v_dual_mul_f32 v128, 0xbf59a7d5, v90 :: v_dual_sub_f32 v77, v77, v127
	v_mul_f32_e32 v134, 0x3f4c4adb, v97
	v_dual_sub_f32 v122, v122, v135 :: v_dual_mul_f32 v133, 0xbf1a4643, v96
	s_delay_alu instid0(VALU_DEP_3) | instskip(NEXT) | instid1(VALU_DEP_4)
	v_dual_sub_f32 v78, v78, v131 :: v_dual_add_f32 v77, v45, v77
	v_dual_mul_f32 v136, 0xbf7ba420, v100 :: v_dual_add_f32 v75, v128, v75
	s_delay_alu instid0(VALU_DEP_3) | instskip(NEXT) | instid1(VALU_DEP_3)
	v_dual_sub_f32 v83, v83, v134 :: v_dual_add_f32 v80, v133, v80
	v_add_f32_e32 v77, v78, v77
	v_mul_f32_e32 v78, 0xbe3c28d5, v101
	v_mul_f32_e32 v127, 0xbf7ee86f, v95
	v_dual_add_f32 v75, v44, v75 :: v_dual_mul_f32 v134, 0x3ee437d1, v121
	v_mul_f32_e32 v139, 0xbf4c4adb, v106
	s_delay_alu instid0(VALU_DEP_4) | instskip(NEXT) | instid1(VALU_DEP_4)
	v_sub_f32_e32 v78, v123, v78
	v_dual_mul_f32 v132, 0x3dbcf732, v94 :: v_dual_sub_f32 v81, v81, v127
	s_delay_alu instid0(VALU_DEP_4) | instskip(SKIP_2) | instid1(VALU_DEP_4)
	v_dual_mul_f32 v128, 0xbf1a4643, v110 :: v_dual_add_f32 v75, v76, v75
	v_mul_f32_e32 v123, 0xbf59a7d5, v117
	v_dual_mul_f32 v177, 0xbf4c4adb, v107 :: v_dual_mul_f32 v198, 0xbf4c4adb, v108
	v_dual_add_f32 v77, v81, v77 :: v_dual_mul_f32 v164, 0xbf59a7d5, v118
	v_mul_f32_e32 v149, 0x3f06c442, v107
	s_delay_alu instid0(VALU_DEP_3) | instskip(SKIP_1) | instid1(VALU_DEP_4)
	v_fmamk_f32 v179, v92, 0xbf1a4643, v177
	v_mul_f32_e32 v159, 0x3dbcf732, v110
	v_add_f32_e32 v77, v83, v77
	v_mul_f32_e32 v131, 0x3f6eb680, v98
	v_mul_f32_e32 v133, 0x3f7ee86f, v111
	;; [unrolled: 1-line block ×3, first 2 shown]
	s_delay_alu instid0(VALU_DEP_4)
	v_dual_mul_f32 v171, 0xbf1a4643, v112 :: v_dual_add_f32 v76, v122, v77
	v_mul_f32_e32 v127, 0x3f3d2fb0, v102
	v_mul_f32_e32 v122, 0x3f6eb680, v114
	;; [unrolled: 1-line block ×4, first 2 shown]
	v_dual_add_f32 v76, v78, v76 :: v_dual_mul_f32 v81, 0x3f2c7751, v103
	v_mul_f32_e32 v78, 0xbf763a35, v105
	v_mul_f32_e32 v83, 0xbe8c1d8e, v104
	v_dual_mul_f32 v157, 0xbf1a4643, v120 :: v_dual_fmamk_f32 v174, v102, 0xbf1a4643, v172
	v_fmamk_f32 v146, v93, 0x3f4c4adb, v171
	s_delay_alu instid0(VALU_DEP_4) | instskip(SKIP_2) | instid1(VALU_DEP_3)
	v_dual_sub_f32 v78, v126, v78 :: v_dual_sub_f32 v77, v124, v81
	v_dual_mul_f32 v124, 0xbe8c1d8e, v112 :: v_dual_add_f32 v79, v132, v79
	v_dual_mul_f32 v126, 0x3f3d2fb0, v118 :: v_dual_add_f32 v81, v83, v129
	v_add_f32_e32 v76, v77, v76
	s_delay_alu instid0(VALU_DEP_3) | instskip(SKIP_1) | instid1(VALU_DEP_3)
	v_dual_mul_f32 v132, 0xbf06c442, v109 :: v_dual_add_f32 v75, v79, v75
	v_fmamk_f32 v79, v91, 0x3f4c4adb, v128
	v_dual_mul_f32 v129, 0xbf65296c, v109 :: v_dual_add_f32 v76, v78, v76
	v_mul_f32_e32 v153, 0x3ee437d1, v117
	s_delay_alu instid0(VALU_DEP_4) | instskip(NEXT) | instid1(VALU_DEP_4)
	v_add_f32_e32 v75, v80, v75
	v_add_f32_e32 v79, v45, v79
	v_dual_fmamk_f32 v80, v93, 0xbf763a35, v124 :: v_dual_add_f32 v77, v131, v82
	v_fmamk_f32 v82, v105, 0xbf65296c, v134
	v_mul_f32_e32 v131, 0xbeb8f4ab, v108
	v_dual_mul_f32 v141, 0x3f2c7751, v108 :: v_dual_mul_f32 v184, 0x3f2c7751, v111
	s_delay_alu instid0(VALU_DEP_4) | instskip(SKIP_3) | instid1(VALU_DEP_4)
	v_dual_add_f32 v78, v80, v79 :: v_dual_fmamk_f32 v79, v95, 0x3eb8f4ab, v122
	v_mul_f32_e32 v187, 0x3dbcf732, v112
	v_mul_f32_e32 v188, 0xbf7ee86f, v115
	;; [unrolled: 1-line block ×3, first 2 shown]
	v_dual_mul_f32 v181, 0x3dbcf732, v120 :: v_dual_add_f32 v78, v79, v78
	v_fmamk_f32 v79, v97, 0x3f06c442, v123
	v_dual_add_f32 v75, v77, v75 :: v_dual_mul_f32 v160, 0xbf1a4643, v121
	v_mul_f32_e32 v150, 0xbe8c1d8e, v110
	s_delay_alu instid0(VALU_DEP_3) | instskip(SKIP_1) | instid1(VALU_DEP_4)
	v_dual_fmamk_f32 v189, v93, 0x3f7ee86f, v187 :: v_dual_add_f32 v78, v79, v78
	v_dual_add_f32 v77, v136, v84 :: v_dual_mul_f32 v136, 0xbeb8f4ab, v115
	v_fmamk_f32 v84, v105, 0x3f4c4adb, v160
	v_mul_f32_e32 v137, 0xbf2c7751, v113
	v_mul_f32_e32 v163, 0xbe3c28d5, v107
	s_delay_alu instid0(VALU_DEP_4) | instskip(SKIP_4) | instid1(VALU_DEP_4)
	v_add_f32_e32 v75, v77, v75
	v_add_f32_e32 v77, v127, v125
	v_mul_f32_e32 v125, 0x3dbcf732, v116
	v_mul_f32_e32 v127, 0xbf7ba420, v120
	;; [unrolled: 1-line block ×3, first 2 shown]
	v_dual_fmamk_f32 v192, v102, 0x3dbcf732, v188 :: v_dual_add_f32 v75, v77, v75
	v_fmamk_f32 v77, v90, 0xbf1a4643, v139
	v_fmamk_f32 v79, v99, 0xbf7ee86f, v125
	v_mul_f32_e32 v148, 0xbf763a35, v106
	v_mul_f32_e32 v135, 0x3f7ee86f, v113
	v_add_f32_e32 v75, v81, v75
	v_add_f32_e32 v77, v44, v77
	v_fmamk_f32 v80, v92, 0xbe8c1d8e, v140
	v_dual_add_f32 v78, v79, v78 :: v_dual_fmamk_f32 v79, v101, 0x3f2c7751, v126
	v_mul_f32_e32 v170, 0x3f3d2fb0, v121
	v_mul_f32_e32 v166, 0x3eb8f4ab, v109
	s_delay_alu instid0(VALU_DEP_4) | instskip(NEXT) | instid1(VALU_DEP_4)
	v_dual_add_f32 v77, v80, v77 :: v_dual_fmamk_f32 v80, v94, 0x3f6eb680, v131
	v_add_f32_e32 v78, v79, v78
	v_fmamk_f32 v79, v103, 0x3e3c28d5, v127
	v_mul_f32_e32 v158, 0xbf7ba420, v116
	v_fmamk_f32 v173, v105, 0xbf2c7751, v170
	v_add_f32_e32 v77, v80, v77
	v_fmamk_f32 v80, v96, 0xbf59a7d5, v132
	v_dual_add_f32 v78, v79, v78 :: v_dual_fmamk_f32 v79, v98, 0x3dbcf732, v133
	v_mul_f32_e32 v155, 0x3dbcf732, v118
	s_delay_alu instid0(VALU_DEP_3)
	v_dual_mul_f32 v144, 0xbe8c1d8e, v114 :: v_dual_add_f32 v77, v80, v77
	v_fmamk_f32 v80, v91, 0x3f763a35, v150
	v_mul_f32_e32 v154, 0x3f65296c, v119
	v_mul_f32_e32 v162, 0x3ee437d1, v116
	;; [unrolled: 1-line block ×3, first 2 shown]
	v_add_f32_e32 v77, v79, v77
	v_dual_fmamk_f32 v79, v100, 0x3f3d2fb0, v137 :: v_dual_add_f32 v80, v45, v80
	v_fmamk_f32 v83, v104, 0x3ee437d1, v154
	v_dual_fmamk_f32 v145, v102, 0x3f6eb680, v136 :: v_dual_mul_f32 v178, 0x3f6eb680, v118
	s_delay_alu instid0(VALU_DEP_3)
	v_dual_add_f32 v77, v79, v77 :: v_dual_add_f32 v78, v82, v78
	v_fmamk_f32 v82, v92, 0xbf59a7d5, v149
	v_fmamk_f32 v81, v93, 0xbf06c442, v151
	;; [unrolled: 1-line block ×3, first 2 shown]
	v_mul_f32_e32 v130, 0xbe3c28d5, v111
	v_mul_f32_e32 v161, 0xbf7ee86f, v106
	;; [unrolled: 1-line block ×3, first 2 shown]
	v_dual_add_f32 v80, v81, v80 :: v_dual_fmamk_f32 v81, v95, 0xbf2c7751, v152
	v_add_f32_e32 v77, v79, v77
	v_dual_mul_f32 v165, 0x3f763a35, v108 :: v_dual_mul_f32 v182, 0x3f763a35, v109
	v_mul_f32_e32 v142, 0x3f6eb680, v120
	s_delay_alu instid0(VALU_DEP_4) | instskip(SKIP_4) | instid1(VALU_DEP_4)
	v_add_f32_e32 v79, v81, v80
	v_fmamk_f32 v81, v90, 0xbe8c1d8e, v148
	v_add_f32_e32 v77, v83, v77
	v_fmamk_f32 v83, v93, 0x3e3c28d5, v143
	v_mul_f32_e32 v167, 0xbf65296c, v111
	v_dual_mul_f32 v202, 0x3f06c442, v111 :: v_dual_add_f32 v81, v44, v81
	v_mul_f32_e32 v185, 0xbf59a7d5, v121
	v_mul_f32_e32 v195, 0xbf7ee86f, v107
	v_add_f32_e32 v47, v47, v45
	v_mul_f32_e32 v193, 0xbf7ba420, v117
	v_add_f32_e32 v81, v82, v81
	v_fmamk_f32 v82, v94, 0x3f3d2fb0, v141
	v_fmamk_f32 v191, v105, 0x3f06c442, v185
	v_mul_f32_e32 v169, 0xbf06c442, v113
	v_fmamk_f32 v197, v92, 0x3dbcf732, v195
	s_delay_alu instid0(VALU_DEP_4)
	v_dual_fmac_f32 v122, 0xbeb8f4ab, v95 :: v_dual_add_f32 v81, v82, v81
	v_fmamk_f32 v82, v96, 0x3ee437d1, v129
	v_fmamk_f32 v80, v97, 0x3f65296c, v153
	v_mul_f32_e32 v156, 0xbf4c4adb, v119
	v_mul_f32_e32 v199, 0x3ee437d1, v120
	v_fmac_f32_e32 v123, 0xbf06c442, v97
	s_delay_alu instid0(VALU_DEP_4) | instskip(SKIP_4) | instid1(VALU_DEP_4)
	v_dual_mul_f32 v190, 0xbf1a4643, v114 :: v_dual_add_f32 v79, v80, v79
	v_fmamk_f32 v80, v99, 0x3e3c28d5, v158
	v_fmac_f32_e32 v125, 0x3f7ee86f, v99
	v_mul_f32_e32 v168, 0x3ee437d1, v110
	v_dual_fmac_f32 v153, 0xbf65296c, v97 :: v_dual_add_f32 v46, v46, v44
	v_dual_add_f32 v79, v80, v79 :: v_dual_fmamk_f32 v80, v101, 0xbf7ee86f, v155
	v_mul_f32_e32 v196, 0xbe8c1d8e, v118
	v_mul_f32_e32 v112, 0x3f3d2fb0, v112
	s_delay_alu instid0(VALU_DEP_4) | instskip(NEXT) | instid1(VALU_DEP_4)
	v_add_f32_e32 v46, v56, v46
	v_dual_mul_f32 v56, 0xbf1a4643, v118 :: v_dual_add_f32 v79, v80, v79
	v_dual_fmamk_f32 v80, v103, 0x3eb8f4ab, v142 :: v_dual_add_f32 v47, v57, v47
	s_delay_alu instid0(VALU_DEP_3) | instskip(NEXT) | instid1(VALU_DEP_2)
	v_dual_mul_f32 v57, 0x3eb8f4ab, v119 :: v_dual_add_f32 v46, v58, v46
	v_dual_mul_f32 v200, 0xbe3c28d5, v109 :: v_dual_add_f32 v79, v80, v79
	v_add_f32_e32 v80, v82, v81
	v_fmamk_f32 v81, v98, 0xbf7ba420, v130
	v_fmamk_f32 v82, v91, 0x3f7ee86f, v159
	v_add_f32_e32 v47, v59, v47
	v_fmamk_f32 v59, v104, 0x3f6eb680, v57
	v_add_f32_e32 v46, v52, v46
	v_dual_add_f32 v80, v81, v80 :: v_dual_fmamk_f32 v81, v100, 0x3dbcf732, v135
	v_add_f32_e32 v82, v45, v82
	v_add_f32_e32 v47, v53, v47
	v_fmamk_f32 v53, v101, 0x3f4c4adb, v56
	v_fmac_f32_e32 v127, 0xbe3c28d5, v103
	s_delay_alu instid0(VALU_DEP_4) | instskip(SKIP_1) | instid1(VALU_DEP_2)
	v_dual_add_f32 v81, v81, v80 :: v_dual_add_f32 v82, v83, v82
	v_dual_fmamk_f32 v83, v95, 0xbf763a35, v144 :: v_dual_add_f32 v80, v84, v79
	v_dual_fmamk_f32 v84, v92, 0xbf7ba420, v163 :: v_dual_add_f32 v79, v145, v81
	v_fmamk_f32 v145, v104, 0xbf1a4643, v156
	s_delay_alu instid0(VALU_DEP_3) | instskip(SKIP_3) | instid1(VALU_DEP_3)
	v_add_f32_e32 v81, v83, v82
	v_fmamk_f32 v83, v90, 0x3dbcf732, v161
	v_add_f32_e32 v46, v54, v46
	v_dual_mul_f32 v54, 0xbf59a7d5, v120 :: v_dual_add_f32 v47, v55, v47
	v_dual_fmac_f32 v126, 0xbf2c7751, v101 :: v_dual_add_f32 v83, v44, v83
	s_delay_alu instid0(VALU_DEP_3) | instskip(NEXT) | instid1(VALU_DEP_3)
	v_add_f32_e32 v46, v64, v46
	v_dual_mul_f32 v64, 0xbf65296c, v108 :: v_dual_add_f32 v47, v65, v47
	s_delay_alu instid0(VALU_DEP_4) | instskip(NEXT) | instid1(VALU_DEP_4)
	v_fmamk_f32 v65, v103, 0x3f06c442, v54
	v_dual_add_f32 v83, v84, v83 :: v_dual_fmamk_f32 v84, v94, 0xbe8c1d8e, v165
	v_add_f32_e32 v79, v145, v79
	v_mul_f32_e32 v145, 0xbf7ba420, v114
	v_add_f32_e32 v46, v66, v46
	s_delay_alu instid0(VALU_DEP_4) | instskip(SKIP_2) | instid1(VALU_DEP_4)
	v_dual_mul_f32 v114, 0x3ee437d1, v114 :: v_dual_add_f32 v83, v84, v83
	v_fmamk_f32 v84, v96, 0x3f6eb680, v166
	v_fmamk_f32 v82, v97, 0xbeb8f4ab, v147
	v_dual_fmamk_f32 v175, v95, 0xbe3c28d5, v145 :: v_dual_add_f32 v46, v60, v46
	v_fmac_f32_e32 v147, 0x3eb8f4ab, v97
	v_fma_f32 v66, 0x3dbcf732, v92, -v195
	s_delay_alu instid0(VALU_DEP_4) | instskip(NEXT) | instid1(VALU_DEP_4)
	v_dual_add_f32 v81, v82, v81 :: v_dual_fmamk_f32 v82, v99, 0x3f65296c, v162
	v_dual_add_f32 v47, v67, v47 :: v_dual_add_f32 v46, v62, v46
	v_fmac_f32_e32 v134, 0x3f65296c, v105
	v_fmac_f32_e32 v160, 0xbf4c4adb, v105
	s_delay_alu instid0(VALU_DEP_4) | instskip(NEXT) | instid1(VALU_DEP_4)
	v_dual_add_f32 v81, v82, v81 :: v_dual_fmamk_f32 v82, v101, 0x3f06c442, v164
	v_dual_add_f32 v47, v61, v47 :: v_dual_add_f32 v8, v8, v46
	v_mul_f32_e32 v46, 0xbf4c4adb, v113
	s_delay_alu instid0(VALU_DEP_3) | instskip(SKIP_1) | instid1(VALU_DEP_4)
	v_dual_mul_f32 v58, 0xbeb8f4ab, v106 :: v_dual_add_f32 v81, v82, v81
	v_fmamk_f32 v82, v103, 0xbf4c4adb, v157
	v_dual_add_f32 v47, v63, v47 :: v_dual_add_f32 v8, v10, v8
	v_fmamk_f32 v205, v93, 0x3f2c7751, v112
	s_delay_alu instid0(VALU_DEP_3) | instskip(SKIP_1) | instid1(VALU_DEP_4)
	v_dual_fmamk_f32 v10, v100, 0xbf1a4643, v46 :: v_dual_add_f32 v81, v82, v81
	v_dual_add_f32 v82, v84, v83 :: v_dual_fmamk_f32 v83, v98, 0x3ee437d1, v167
	v_dual_fmamk_f32 v84, v91, 0x3f65296c, v168 :: v_dual_add_f32 v9, v9, v47
	v_dual_add_f32 v4, v4, v8 :: v_dual_mul_f32 v207, 0x3dbcf732, v117
	s_delay_alu instid0(VALU_DEP_3) | instskip(NEXT) | instid1(VALU_DEP_3)
	v_dual_add_f32 v82, v83, v82 :: v_dual_fmamk_f32 v83, v100, 0xbf59a7d5, v169
	v_dual_add_f32 v84, v45, v84 :: v_dual_mul_f32 v61, 0xbf7ee86f, v109
	v_fmac_f32_e32 v168, 0xbf65296c, v91
	v_fma_f32 v63, 0xbf1a4643, v92, -v177
	s_delay_alu instid0(VALU_DEP_4) | instskip(SKIP_3) | instid1(VALU_DEP_4)
	v_dual_add_f32 v83, v83, v82 :: v_dual_add_f32 v82, v173, v81
	v_mul_f32_e32 v173, 0xbf65296c, v106
	v_fma_f32 v46, 0xbf1a4643, v100, -v46
	v_dual_add_f32 v9, v11, v9 :: v_dual_fmac_f32 v128, 0xbf4c4adb, v91
	v_add_f32_e32 v81, v174, v83
	v_add_f32_e32 v84, v146, v84
	v_mul_f32_e32 v146, 0xbe8c1d8e, v117
	v_mul_f32_e32 v174, 0x3f3d2fb0, v116
	v_fmamk_f32 v176, v90, 0x3ee437d1, v173
	v_add_f32_e32 v4, v6, v4
	s_delay_alu instid0(VALU_DEP_4) | instskip(NEXT) | instid1(VALU_DEP_3)
	v_dual_add_f32 v83, v175, v84 :: v_dual_fmamk_f32 v84, v97, 0xbf763a35, v146
	v_dual_mul_f32 v175, 0x3f2c7751, v119 :: v_dual_add_f32 v176, v44, v176
	v_dual_add_f32 v9, v5, v9 :: v_dual_fmac_f32 v142, 0xbeb8f4ab, v103
	s_delay_alu instid0(VALU_DEP_3) | instskip(NEXT) | instid1(VALU_DEP_3)
	v_dual_add_f32 v83, v84, v83 :: v_dual_fmamk_f32 v84, v99, 0xbf2c7751, v174
	v_dual_add_f32 v176, v179, v176 :: v_dual_fmamk_f32 v179, v94, 0xbf7ba420, v180
	s_delay_alu instid0(VALU_DEP_4) | instskip(SKIP_1) | instid1(VALU_DEP_4)
	v_fmamk_f32 v183, v104, 0x3f3d2fb0, v175
	v_add_f32_e32 v0, v0, v4
	v_dual_add_f32 v83, v84, v83 :: v_dual_fmamk_f32 v84, v101, 0x3eb8f4ab, v178
	s_delay_alu instid0(VALU_DEP_4) | instskip(SKIP_2) | instid1(VALU_DEP_4)
	v_dual_add_f32 v176, v179, v176 :: v_dual_fmamk_f32 v179, v96, 0xbe8c1d8e, v182
	v_fmac_f32_e32 v124, 0x3f763a35, v93
	v_fmac_f32_e32 v159, 0xbf7ee86f, v91
	v_dual_add_f32 v83, v84, v83 :: v_dual_fmamk_f32 v84, v103, 0x3f7ee86f, v181
	v_mul_f32_e32 v47, 0xbf7ba420, v121
	v_dual_add_f32 v7, v7, v9 :: v_dual_add_f32 v0, v2, v0
	v_mul_f32_e32 v60, 0xbf763a35, v111
	s_delay_alu instid0(VALU_DEP_4)
	v_dual_add_f32 v83, v84, v83 :: v_dual_add_f32 v84, v179, v176
	v_fmamk_f32 v176, v98, 0x3f3d2fb0, v184
	v_mul_f32_e32 v179, 0xbeb8f4ab, v113
	v_add_f32_e32 v81, v183, v81
	v_mul_f32_e32 v183, 0x3f3d2fb0, v110
	v_mul_f32_e32 v110, 0x3f6eb680, v110
	v_add_f32_e32 v84, v176, v84
	v_dual_fmamk_f32 v176, v100, 0x3f6eb680, v179 :: v_dual_add_f32 v1, v1, v7
	s_delay_alu instid0(VALU_DEP_4) | instskip(NEXT) | instid1(VALU_DEP_4)
	v_fmamk_f32 v186, v91, 0x3f2c7751, v183
	v_dual_fmamk_f32 v203, v91, 0x3eb8f4ab, v110 :: v_dual_add_f32 v0, v69, v0
	s_delay_alu instid0(VALU_DEP_3) | instskip(SKIP_1) | instid1(VALU_DEP_4)
	v_add_f32_e32 v176, v176, v84
	v_add_f32_e32 v84, v191, v83
	v_dual_add_f32 v186, v45, v186 :: v_dual_mul_f32 v191, 0xbf59a7d5, v116
	v_add_f32_e32 v1, v3, v1
	s_delay_alu instid0(VALU_DEP_4) | instskip(NEXT) | instid1(VALU_DEP_3)
	v_dual_add_f32 v83, v192, v176 :: v_dual_mul_f32 v192, 0xbf06c442, v119
	v_dual_add_f32 v186, v189, v186 :: v_dual_fmamk_f32 v189, v95, 0x3f4c4adb, v190
	v_dual_mul_f32 v176, 0xbf2c7751, v106 :: v_dual_add_f32 v3, v45, v128
	v_fmamk_f32 v11, v105, 0x3e3c28d5, v47
	v_fmac_f32_e32 v190, 0xbf4c4adb, v95
	s_delay_alu instid0(VALU_DEP_4)
	v_add_f32_e32 v186, v189, v186
	v_fmamk_f32 v189, v97, 0x3e3c28d5, v193
	v_fmamk_f32 v194, v90, 0x3f3d2fb0, v176
	v_add_f32_e32 v2, v124, v3
	v_fmac_f32_e32 v157, 0x3f4c4adb, v103
	v_fmac_f32_e32 v144, 0x3f763a35, v95
	v_dual_add_f32 v186, v189, v186 :: v_dual_fmamk_f32 v189, v99, 0xbf06c442, v191
	v_fmamk_f32 v201, v104, 0xbf59a7d5, v192
	v_add_f32_e32 v194, v44, v194
	v_dual_add_f32 v2, v122, v2 :: v_dual_mul_f32 v55, 0xbf2c7751, v107
	s_delay_alu instid0(VALU_DEP_4) | instskip(SKIP_3) | instid1(VALU_DEP_3)
	v_add_f32_e32 v186, v189, v186
	v_fmamk_f32 v189, v101, 0xbf763a35, v196
	v_add_f32_e32 v83, v201, v83
	v_dual_mul_f32 v201, 0x3f6eb680, v121 :: v_dual_add_f32 v194, v197, v194
	v_dual_fmamk_f32 v197, v94, 0xbf1a4643, v198 :: v_dual_add_f32 v186, v189, v186
	v_fmamk_f32 v189, v103, 0xbf65296c, v199
	s_delay_alu instid0(VALU_DEP_3) | instskip(SKIP_1) | instid1(VALU_DEP_4)
	v_fmamk_f32 v206, v105, 0xbeb8f4ab, v201
	v_add_f32_e32 v2, v123, v2
	v_dual_add_f32 v194, v197, v194 :: v_dual_fmamk_f32 v197, v96, 0xbf7ba420, v200
	s_delay_alu instid0(VALU_DEP_4) | instskip(NEXT) | instid1(VALU_DEP_3)
	v_dual_add_f32 v186, v189, v186 :: v_dual_fmac_f32 v171, 0xbf4c4adb, v93
	v_dual_fmac_f32 v201, 0x3eb8f4ab, v105 :: v_dual_add_f32 v2, v125, v2
	s_delay_alu instid0(VALU_DEP_3) | instskip(SKIP_1) | instid1(VALU_DEP_4)
	v_dual_add_f32 v189, v197, v194 :: v_dual_fmamk_f32 v194, v98, 0xbf59a7d5, v202
	v_mul_f32_e32 v197, 0x3f763a35, v113
	v_add_f32_e32 v117, v206, v186
	v_fmac_f32_e32 v185, 0xbf06c442, v105
	v_fmac_f32_e32 v196, 0x3f763a35, v101
	s_delay_alu instid0(VALU_DEP_4) | instskip(SKIP_3) | instid1(VALU_DEP_4)
	v_dual_add_f32 v189, v194, v189 :: v_dual_fmamk_f32 v194, v100, 0xbe8c1d8e, v197
	v_mul_f32_e32 v204, 0x3f65296c, v115
	v_add_f32_e32 v203, v45, v203
	v_fmac_f32_e32 v150, 0xbf763a35, v91
	v_dual_fmac_f32 v152, 0x3f2c7751, v95 :: v_dual_add_f32 v189, v194, v189
	s_delay_alu instid0(VALU_DEP_3) | instskip(SKIP_3) | instid1(VALU_DEP_4)
	v_dual_fmamk_f32 v194, v102, 0x3ee437d1, v204 :: v_dual_add_f32 v203, v205, v203
	v_fmamk_f32 v205, v95, 0x3f65296c, v114
	v_fmac_f32_e32 v158, 0xbe3c28d5, v99
	v_add_f32_e32 v2, v126, v2
	v_add_f32_e32 v186, v194, v189
	v_fmamk_f32 v194, v97, 0x3f7ee86f, v207
	v_add_f32_e32 v189, v205, v203
	s_delay_alu instid0(VALU_DEP_4) | instskip(SKIP_2) | instid1(VALU_DEP_3)
	v_dual_mul_f32 v203, 0xbe8c1d8e, v116 :: v_dual_add_f32 v2, v127, v2
	v_fmac_f32_e32 v183, 0xbf2c7751, v91
	v_fmac_f32_e32 v164, 0xbf06c442, v101
	v_dual_add_f32 v116, v194, v189 :: v_dual_fmamk_f32 v189, v99, 0x3f763a35, v203
	v_fmac_f32_e32 v170, 0x3f2c7751, v105
	v_fmac_f32_e32 v162, 0xbf65296c, v99
	;; [unrolled: 1-line block ×4, first 2 shown]
	v_add_f32_e32 v118, v189, v116
	v_dual_add_f32 v116, v59, v186 :: v_dual_fmamk_f32 v59, v92, 0x3f3d2fb0, v55
	v_fmac_f32_e32 v193, 0xbe3c28d5, v97
	v_fma_f32 v55, 0x3f3d2fb0, v92, -v55
	s_delay_alu instid0(VALU_DEP_4) | instskip(SKIP_2) | instid1(VALU_DEP_3)
	v_dual_add_f32 v52, v53, v118 :: v_dual_fmamk_f32 v53, v90, 0x3f6eb680, v58
	v_fma_f32 v58, 0x3f6eb680, v90, -v58
	v_fmac_f32_e32 v187, 0xbf7ee86f, v93
	v_dual_fmac_f32 v143, 0xbe3c28d5, v93 :: v_dual_add_f32 v52, v65, v52
	s_delay_alu instid0(VALU_DEP_4)
	v_add_f32_e32 v53, v44, v53
	v_fmac_f32_e32 v191, 0x3f06c442, v99
	v_fmac_f32_e32 v145, 0x3e3c28d5, v95
	;; [unrolled: 1-line block ×3, first 2 shown]
	v_add_f32_e32 v5, v11, v52
	v_dual_add_f32 v53, v59, v53 :: v_dual_mul_f32 v52, 0xbe3c28d5, v119
	v_fmamk_f32 v59, v94, 0x3ee437d1, v64
	v_fma_f32 v11, 0xbf7ba420, v92, -v163
	v_fmac_f32_e32 v178, 0xbeb8f4ab, v101
	v_fmac_f32_e32 v110, 0xbeb8f4ab, v91
	v_fmamk_f32 v7, v104, 0xbf7ba420, v52
	v_add_f32_e32 v53, v59, v53
	v_fmamk_f32 v59, v96, 0x3dbcf732, v61
	v_fma_f32 v52, 0xbf7ba420, v104, -v52
	v_fmac_f32_e32 v112, 0xbf2c7751, v93
	v_fmac_f32_e32 v114, 0xbf65296c, v95
	;; [unrolled: 1-line block ×3, first 2 shown]
	v_add_f32_e32 v53, v59, v53
	v_fmamk_f32 v59, v98, 0xbe8c1d8e, v60
	s_delay_alu instid0(VALU_DEP_1) | instskip(NEXT) | instid1(VALU_DEP_1)
	v_dual_fmac_f32 v54, 0xbf06c442, v103 :: v_dual_add_f32 v53, v59, v53
	v_dual_mul_f32 v59, 0xbf06c442, v115 :: v_dual_add_f32 v8, v10, v53
	s_delay_alu instid0(VALU_DEP_1) | instskip(SKIP_2) | instid1(VALU_DEP_3)
	v_fmamk_f32 v9, v102, 0xbf59a7d5, v59
	v_fma_f32 v10, 0xbf59a7d5, v92, -v149
	v_fma_f32 v53, 0xbf59a7d5, v100, -v169
	v_dual_fmac_f32 v155, 0x3f7ee86f, v101 :: v_dual_add_f32 v6, v9, v8
	v_fma_f32 v8, 0xbf7ba420, v102, -v138
	s_delay_alu instid0(VALU_DEP_2) | instskip(SKIP_3) | instid1(VALU_DEP_3)
	v_add_f32_e32 v4, v7, v6
	v_fma_f32 v6, 0xbf1a4643, v90, -v139
	v_add_f32_e32 v7, v45, v150
	v_fmac_f32_e32 v203, 0xbf763a35, v99
	v_add_f32_e32 v3, v44, v6
	v_fma_f32 v6, 0xbe8c1d8e, v92, -v140
	s_delay_alu instid0(VALU_DEP_1) | instskip(SKIP_1) | instid1(VALU_DEP_1)
	v_add_f32_e32 v3, v6, v3
	v_fma_f32 v6, 0x3f6eb680, v94, -v131
	v_add_f32_e32 v3, v6, v3
	v_fma_f32 v6, 0xbf59a7d5, v96, -v132
	s_delay_alu instid0(VALU_DEP_1) | instskip(SKIP_1) | instid1(VALU_DEP_1)
	v_add_f32_e32 v3, v6, v3
	v_fma_f32 v6, 0x3dbcf732, v98, -v133
	v_add_f32_e32 v3, v6, v3
	v_fma_f32 v6, 0x3f3d2fb0, v100, -v137
	s_delay_alu instid0(VALU_DEP_1) | instskip(SKIP_2) | instid1(VALU_DEP_3)
	v_add_f32_e32 v6, v6, v3
	v_add_f32_e32 v3, v134, v2
	v_fma_f32 v2, 0xbe8c1d8e, v90, -v148
	v_add_f32_e32 v6, v8, v6
	v_fma_f32 v8, 0x3ee437d1, v104, -v154
	s_delay_alu instid0(VALU_DEP_3) | instskip(NEXT) | instid1(VALU_DEP_2)
	v_add_f32_e32 v9, v44, v2
	v_add_f32_e32 v2, v8, v6
	s_delay_alu instid0(VALU_DEP_2) | instskip(SKIP_2) | instid1(VALU_DEP_2)
	v_add_f32_e32 v8, v10, v9
	v_fma_f32 v9, 0x3f3d2fb0, v94, -v141
	v_dual_add_f32 v10, v45, v159 :: v_dual_fmac_f32 v47, 0xbe3c28d5, v105
	v_add_f32_e32 v8, v9, v8
	v_fma_f32 v9, 0x3ee437d1, v96, -v129
	s_delay_alu instid0(VALU_DEP_3) | instskip(NEXT) | instid1(VALU_DEP_2)
	v_add_f32_e32 v10, v143, v10
	v_add_f32_e32 v8, v9, v8
	v_fma_f32 v9, 0xbf7ba420, v98, -v130
	s_delay_alu instid0(VALU_DEP_3) | instskip(NEXT) | instid1(VALU_DEP_2)
	v_add_f32_e32 v10, v144, v10
	v_dual_add_f32 v8, v9, v8 :: v_dual_add_f32 v1, v70, v1
	s_delay_alu instid0(VALU_DEP_2) | instskip(SKIP_1) | instid1(VALU_DEP_2)
	v_dual_add_f32 v10, v147, v10 :: v_dual_fmac_f32 v151, 0x3f06c442, v93
	v_fma_f32 v9, 0x3dbcf732, v100, -v135
	v_dual_add_f32 v10, v162, v10 :: v_dual_add_f32 v7, v151, v7
	s_delay_alu instid0(VALU_DEP_2) | instskip(SKIP_1) | instid1(VALU_DEP_3)
	v_add_f32_e32 v8, v9, v8
	v_fma_f32 v9, 0x3f6eb680, v102, -v136
	v_add_f32_e32 v10, v164, v10
	s_delay_alu instid0(VALU_DEP_2) | instskip(SKIP_1) | instid1(VALU_DEP_2)
	v_dual_add_f32 v7, v152, v7 :: v_dual_add_f32 v8, v9, v8
	v_fma_f32 v9, 0xbf1a4643, v104, -v156
	v_add_f32_e32 v7, v153, v7
	s_delay_alu instid0(VALU_DEP_1) | instskip(NEXT) | instid1(VALU_DEP_1)
	v_add_f32_e32 v7, v158, v7
	v_add_f32_e32 v7, v155, v7
	s_delay_alu instid0(VALU_DEP_1) | instskip(NEXT) | instid1(VALU_DEP_1)
	v_add_f32_e32 v6, v142, v7
	v_add_f32_e32 v7, v160, v6
	v_fma_f32 v6, 0x3dbcf732, v90, -v161
	s_delay_alu instid0(VALU_DEP_1) | instskip(NEXT) | instid1(VALU_DEP_1)
	v_add_f32_e32 v6, v44, v6
	v_add_f32_e32 v6, v11, v6
	v_fma_f32 v11, 0xbe8c1d8e, v94, -v165
	s_delay_alu instid0(VALU_DEP_1) | instskip(SKIP_1) | instid1(VALU_DEP_1)
	v_add_f32_e32 v6, v11, v6
	v_fma_f32 v11, 0x3f6eb680, v96, -v166
	v_add_f32_e32 v6, v11, v6
	v_fma_f32 v11, 0x3ee437d1, v98, -v167
	s_delay_alu instid0(VALU_DEP_1) | instskip(SKIP_1) | instid1(VALU_DEP_2)
	v_dual_add_f32 v11, v11, v6 :: v_dual_add_f32 v6, v9, v8
	v_add_f32_e32 v8, v157, v10
	v_add_f32_e32 v10, v53, v11
	v_fma_f32 v11, 0xbf1a4643, v102, -v172
	s_delay_alu instid0(VALU_DEP_3) | instskip(SKIP_1) | instid1(VALU_DEP_3)
	v_add_f32_e32 v9, v170, v8
	v_fma_f32 v8, 0x3ee437d1, v90, -v173
	v_dual_add_f32 v53, v45, v168 :: v_dual_add_f32 v10, v11, v10
	v_fma_f32 v11, 0x3f3d2fb0, v104, -v175
	s_delay_alu instid0(VALU_DEP_2) | instskip(NEXT) | instid1(VALU_DEP_2)
	v_dual_add_f32 v62, v44, v8 :: v_dual_add_f32 v53, v171, v53
	v_add_f32_e32 v8, v11, v10
	s_delay_alu instid0(VALU_DEP_2) | instskip(SKIP_1) | instid1(VALU_DEP_2)
	v_dual_add_f32 v11, v63, v62 :: v_dual_add_f32 v62, v45, v183
	v_fma_f32 v63, 0x3dbcf732, v102, -v188
	v_add_f32_e32 v62, v187, v62
	s_delay_alu instid0(VALU_DEP_1) | instskip(NEXT) | instid1(VALU_DEP_1)
	v_add_f32_e32 v62, v190, v62
	v_add_f32_e32 v62, v193, v62
	s_delay_alu instid0(VALU_DEP_1) | instskip(SKIP_2) | instid1(VALU_DEP_1)
	v_add_f32_e32 v62, v191, v62
	v_add_f32_e32 v10, v145, v53
	v_fma_f32 v53, 0xbf7ba420, v94, -v180
	v_dual_add_f32 v10, v146, v10 :: v_dual_add_f32 v11, v53, v11
	v_fma_f32 v53, 0xbe8c1d8e, v96, -v182
	s_delay_alu instid0(VALU_DEP_1) | instskip(SKIP_1) | instid1(VALU_DEP_1)
	v_dual_add_f32 v10, v174, v10 :: v_dual_add_f32 v11, v53, v11
	v_fma_f32 v53, 0x3f3d2fb0, v98, -v184
	v_dual_add_f32 v10, v178, v10 :: v_dual_add_f32 v11, v53, v11
	v_fma_f32 v53, 0x3f6eb680, v100, -v179
	s_delay_alu instid0(VALU_DEP_2) | instskip(NEXT) | instid1(VALU_DEP_2)
	v_add_f32_e32 v10, v181, v10
	v_add_f32_e32 v53, v53, v11
	s_delay_alu instid0(VALU_DEP_2) | instskip(SKIP_1) | instid1(VALU_DEP_3)
	v_add_f32_e32 v11, v185, v10
	v_fma_f32 v10, 0x3f3d2fb0, v90, -v176
	v_dual_add_f32 v62, v196, v62 :: v_dual_add_f32 v53, v63, v53
	v_fma_f32 v63, 0xbf59a7d5, v104, -v192
	s_delay_alu instid0(VALU_DEP_3) | instskip(SKIP_1) | instid1(VALU_DEP_3)
	v_add_f32_e32 v65, v44, v10
	v_add_f32_e32 v44, v44, v58
	;; [unrolled: 1-line block ×3, first 2 shown]
	v_fma_f32 v63, 0xbf1a4643, v94, -v198
	s_delay_alu instid0(VALU_DEP_3) | instskip(SKIP_1) | instid1(VALU_DEP_1)
	v_add_f32_e32 v44, v55, v44
	v_fma_f32 v55, 0x3ee437d1, v94, -v64
	v_add_f32_e32 v44, v55, v44
	v_fma_f32 v55, 0x3dbcf732, v96, -v61
	v_fmac_f32_e32 v199, 0x3f65296c, v103
	v_fma_f32 v61, 0xbe8c1d8e, v100, -v197
	s_delay_alu instid0(VALU_DEP_3) | instskip(NEXT) | instid1(VALU_DEP_3)
	v_add_f32_e32 v44, v55, v44
	v_dual_add_f32 v53, v199, v62 :: v_dual_add_f32 v62, v66, v65
	v_fma_f32 v55, 0xbe8c1d8e, v98, -v60
	v_add_f32_e32 v45, v45, v110
	v_fma_f32 v60, 0x3ee437d1, v102, -v204
	s_delay_alu instid0(VALU_DEP_4) | instskip(NEXT) | instid1(VALU_DEP_4)
	v_add_f32_e32 v58, v63, v62
	v_add_f32_e32 v44, v55, v44
	v_fma_f32 v62, 0xbf7ba420, v96, -v200
	s_delay_alu instid0(VALU_DEP_2) | instskip(NEXT) | instid1(VALU_DEP_2)
	v_dual_fmac_f32 v207, 0xbf7ee86f, v97 :: v_dual_add_f32 v44, v46, v44
	v_add_f32_e32 v58, v62, v58
	v_fma_f32 v62, 0xbf59a7d5, v98, -v202
	v_fma_f32 v46, 0xbf59a7d5, v102, -v59
	s_delay_alu instid0(VALU_DEP_2) | instskip(NEXT) | instid1(VALU_DEP_2)
	v_dual_add_f32 v58, v62, v58 :: v_dual_add_f32 v45, v112, v45
	v_add_f32_e32 v46, v46, v44
	s_delay_alu instid0(VALU_DEP_2) | instskip(NEXT) | instid1(VALU_DEP_2)
	v_add_f32_e32 v58, v61, v58
	v_add_f32_e32 v46, v52, v46
	s_delay_alu instid0(VALU_DEP_2) | instskip(SKIP_1) | instid1(VALU_DEP_1)
	v_add_f32_e32 v55, v60, v58
	v_add_f32_e32 v45, v114, v45
	;; [unrolled: 1-line block ×3, first 2 shown]
	s_delay_alu instid0(VALU_DEP_1) | instskip(NEXT) | instid1(VALU_DEP_1)
	v_add_f32_e32 v45, v203, v45
	v_add_f32_e32 v45, v56, v45
	v_fma_f32 v56, 0x3f6eb680, v104, -v57
	s_delay_alu instid0(VALU_DEP_2) | instskip(SKIP_1) | instid1(VALU_DEP_2)
	v_dual_add_f32 v54, v54, v45 :: v_dual_and_b32 v57, 0xffff, v88
	v_add_f32_e32 v45, v201, v53
	v_dual_add_f32 v44, v56, v55 :: v_dual_lshlrev_b32 v57, 3, v57
	s_delay_alu instid0(VALU_DEP_3)
	v_add_f32_e32 v47, v47, v54
	ds_store_2addr_b64 v57, v[0:1], v[4:5] offset1:1
	ds_store_2addr_b64 v57, v[116:117], v[83:84] offset0:2 offset1:3
	ds_store_2addr_b64 v57, v[81:82], v[79:80] offset0:4 offset1:5
	ds_store_2addr_b64 v57, v[77:78], v[75:76] offset0:6 offset1:7
	ds_store_2addr_b64 v57, v[48:49], v[50:51] offset0:8 offset1:9
	ds_store_2addr_b64 v57, v[73:74], v[2:3] offset0:10 offset1:11
	ds_store_2addr_b64 v57, v[6:7], v[8:9] offset0:12 offset1:13
	ds_store_2addr_b64 v57, v[10:11], v[44:45] offset0:14 offset1:15
	ds_store_b64 v57, v[46:47] offset:128
.LBB0_17:
	s_wait_alu 0xfffe
	s_or_b32 exec_lo, exec_lo, s1
	global_wb scope:SCOPE_SE
	s_wait_dscnt 0x0
	s_barrier_signal -1
	s_barrier_wait -1
	global_inv scope:SCOPE_SE
	ds_load_2addr_b64 v[0:3], v86 offset1:187
	v_add_nc_u32_e32 v4, 0xa00, v86
	v_add_nc_u32_e32 v44, 0x2200, v86
	ds_load_2addr_b64 v[4:7], v4 offset0:54 offset1:241
	v_add_nc_u32_e32 v8, 0x1600, v86
	s_wait_dscnt 0x1
	v_mul_f32_e32 v52, v25, v3
	v_mul_f32_e32 v25, v25, v2
	s_delay_alu instid0(VALU_DEP_2) | instskip(NEXT) | instid1(VALU_DEP_2)
	v_fmac_f32_e32 v52, v24, v2
	v_fma_f32 v2, v24, v3, -v25
	s_wait_dscnt 0x0
	v_mul_f32_e32 v25, v21, v7
	ds_load_2addr_b64 v[8:11], v8 offset0:44 offset1:231
	ds_load_2addr_b64 v[44:47], v44 offset0:34 offset1:221
	v_mul_f32_e32 v3, v27, v5
	v_dual_mul_f32 v24, v27, v4 :: v_dual_mul_f32 v21, v21, v6
	global_wb scope:SCOPE_SE
	s_wait_dscnt 0x0
	s_barrier_signal -1
	v_fmac_f32_e32 v3, v26, v4
	v_fma_f32 v4, v26, v5, -v24
	s_barrier_wait -1
	global_inv scope:SCOPE_SE
	v_mul_f32_e32 v27, v23, v9
	v_mul_f32_e32 v23, v23, v8
	;; [unrolled: 1-line block ×3, first 2 shown]
	v_dual_mul_f32 v13, v13, v10 :: v_dual_mul_f32 v54, v15, v45
	v_fmac_f32_e32 v25, v20, v6
	s_delay_alu instid0(VALU_DEP_4)
	v_fma_f32 v6, v22, v9, -v23
	v_fmac_f32_e32 v27, v22, v8
	v_mul_f32_e32 v8, v15, v44
	v_fma_f32 v5, v20, v7, -v21
	v_fma_f32 v7, v12, v11, -v13
	v_sub_f32_e32 v6, v1, v6
	v_fmac_f32_e32 v54, v14, v44
	v_fma_f32 v8, v14, v45, -v8
	s_delay_alu instid0(VALU_DEP_4) | instskip(NEXT) | instid1(VALU_DEP_4)
	v_sub_f32_e32 v7, v2, v7
	v_fma_f32 v1, v1, 2.0, -v6
	s_delay_alu instid0(VALU_DEP_3) | instskip(NEXT) | instid1(VALU_DEP_3)
	v_sub_f32_e32 v8, v4, v8
	v_fma_f32 v2, v2, 2.0, -v7
	s_delay_alu instid0(VALU_DEP_2) | instskip(SKIP_3) | instid1(VALU_DEP_4)
	v_fma_f32 v4, v4, 2.0, -v8
	v_fmac_f32_e32 v53, v12, v10
	v_mul_f32_e32 v10, v72, v46
	v_dual_mul_f32 v9, v72, v47 :: v_dual_sub_f32 v12, v3, v54
	v_sub_f32_e32 v20, v1, v4
	s_delay_alu instid0(VALU_DEP_3) | instskip(SKIP_1) | instid1(VALU_DEP_4)
	v_fma_f32 v10, v71, v47, -v10
	v_sub_f32_e32 v11, v0, v27
	v_fma_f32 v3, v3, 2.0, -v12
	v_dual_fmac_f32 v9, v71, v46 :: v_dual_sub_f32 v22, v6, v12
	s_delay_alu instid0(VALU_DEP_4) | instskip(NEXT) | instid1(VALU_DEP_4)
	v_sub_f32_e32 v10, v5, v10
	v_fma_f32 v0, v0, 2.0, -v11
	v_add_f32_e32 v21, v11, v8
	v_fma_f32 v1, v1, 2.0, -v20
	s_delay_alu instid0(VALU_DEP_4) | instskip(NEXT) | instid1(VALU_DEP_3)
	v_fma_f32 v4, v5, 2.0, -v10
	v_fma_f32 v8, v11, 2.0, -v21
	v_sub_f32_e32 v13, v52, v53
	s_delay_alu instid0(VALU_DEP_1) | instskip(NEXT) | instid1(VALU_DEP_1)
	v_dual_sub_f32 v15, v0, v3 :: v_dual_add_f32 v12, v13, v10
	v_fma_f32 v0, v0, 2.0, -v15
	v_sub_f32_e32 v9, v25, v9
	s_delay_alu instid0(VALU_DEP_1) | instskip(SKIP_3) | instid1(VALU_DEP_4)
	v_dual_sub_f32 v23, v2, v4 :: v_dual_sub_f32 v24, v7, v9
	v_fma_f32 v3, v25, 2.0, -v9
	v_fma_f32 v9, v13, 2.0, -v12
	;; [unrolled: 1-line block ×5, first 2 shown]
	v_fmamk_f32 v11, v24, 0x3f3504f3, v22
	v_fmamk_f32 v6, v9, 0xbf3504f3, v8
	v_fma_f32 v14, v52, 2.0, -v13
	v_sub_f32_e32 v5, v1, v2
	v_fmamk_f32 v7, v10, 0xbf3504f3, v25
	v_fmac_f32_e32 v11, 0xbf3504f3, v12
	s_delay_alu instid0(VALU_DEP_4) | instskip(SKIP_1) | instid1(VALU_DEP_4)
	v_dual_fmac_f32 v6, 0x3f3504f3, v10 :: v_dual_sub_f32 v3, v14, v3
	v_fmamk_f32 v10, v12, 0x3f3504f3, v21
	v_fmac_f32_e32 v7, 0xbf3504f3, v9
	s_delay_alu instid0(VALU_DEP_3) | instskip(NEXT) | instid1(VALU_DEP_4)
	v_fma_f32 v2, v8, 2.0, -v6
	v_fma_f32 v4, v14, 2.0, -v3
	v_add_f32_e32 v8, v15, v23
	v_dual_sub_f32 v9, v20, v3 :: v_dual_fmac_f32 v10, 0x3f3504f3, v24
	v_fma_f32 v1, v1, 2.0, -v5
	s_delay_alu instid0(VALU_DEP_4)
	v_sub_f32_e32 v4, v0, v4
	v_fma_f32 v3, v25, 2.0, -v7
	v_fma_f32 v12, v15, 2.0, -v8
	;; [unrolled: 1-line block ×6, first 2 shown]
	ds_store_2addr_b64 v89, v[0:1], v[2:3] offset1:17
	ds_store_2addr_b64 v89, v[12:13], v[14:15] offset0:34 offset1:51
	ds_store_2addr_b64 v89, v[4:5], v[6:7] offset0:68 offset1:85
	;; [unrolled: 1-line block ×3, first 2 shown]
	global_wb scope:SCOPE_SE
	s_wait_dscnt 0x0
	s_barrier_signal -1
	s_barrier_wait -1
	global_inv scope:SCOPE_SE
	s_and_saveexec_b32 s1, s0
	s_cbranch_execz .LBB0_19
; %bb.18:
	v_add_nc_u32_e32 v4, 0x800, v86
	v_add_nc_u32_e32 v5, 0x1000, v86
	;; [unrolled: 1-line block ×4, first 2 shown]
	ds_load_2addr_b64 v[0:3], v86 offset1:136
	ds_load_2addr_b64 v[12:15], v4 offset0:16 offset1:152
	ds_load_2addr_b64 v[4:7], v5 offset0:32 offset1:168
	;; [unrolled: 1-line block ×4, first 2 shown]
	ds_load_b64 v[73:74], v86 offset:10880
.LBB0_19:
	s_wait_alu 0xfffe
	s_or_b32 exec_lo, exec_lo, s1
	s_and_saveexec_b32 s1, s0
	s_cbranch_execz .LBB0_21
; %bb.20:
	s_wait_dscnt 0x0
	v_dual_mul_f32 v21, v37, v3 :: v_dual_mul_f32 v20, v43, v74
	v_dual_mul_f32 v22, v43, v73 :: v_dual_mul_f32 v23, v37, v2
	;; [unrolled: 1-line block ×3, first 2 shown]
	s_delay_alu instid0(VALU_DEP_3) | instskip(NEXT) | instid1(VALU_DEP_3)
	v_dual_fmac_f32 v21, v36, v2 :: v_dual_fmac_f32 v20, v42, v73
	v_fma_f32 v22, v42, v74, -v22
	s_delay_alu instid0(VALU_DEP_4) | instskip(NEXT) | instid1(VALU_DEP_4)
	v_fma_f32 v23, v36, v3, -v23
	v_dual_fmac_f32 v24, v38, v12 :: v_dual_fmac_f32 v25, v40, v50
	s_delay_alu instid0(VALU_DEP_2) | instskip(SKIP_1) | instid1(VALU_DEP_3)
	v_dual_sub_f32 v3, v21, v20 :: v_dual_add_f32 v36, v22, v23
	v_mul_f32_e32 v26, v41, v50
	v_sub_f32_e32 v2, v24, v25
	s_delay_alu instid0(VALU_DEP_3) | instskip(SKIP_1) | instid1(VALU_DEP_4)
	v_dual_mul_f32 v12, v39, v12 :: v_dual_mul_f32 v27, 0xbf7d64f0, v3
	v_mul_f32_e32 v39, v29, v15
	v_fma_f32 v26, v40, v51, -v26
	v_sub_f32_e32 v45, v23, v22
	s_delay_alu instid0(VALU_DEP_4)
	v_fma_f32 v37, v38, v13, -v12
	v_mul_f32_e32 v13, 0x3e903f40, v2
	v_fmamk_f32 v12, v36, 0xbe11bafb, v27
	v_fmac_f32_e32 v39, v28, v14
	v_mul_f32_e32 v14, v29, v14
	v_add_f32_e32 v38, v26, v37
	v_mul_f32_e32 v40, v35, v49
	v_mul_f32_e32 v35, v35, v48
	v_dual_add_f32 v12, v1, v12 :: v_dual_mul_f32 v29, v31, v5
	s_delay_alu instid0(VALU_DEP_4) | instskip(SKIP_2) | instid1(VALU_DEP_3)
	v_dual_mul_f32 v42, v33, v11 :: v_dual_fmamk_f32 v41, v38, 0xbf75a155, v13
	v_mul_f32_e32 v44, v19, v9
	v_fma_f32 v27, 0xbe11bafb, v36, -v27
	v_dual_fmac_f32 v29, v30, v4 :: v_dual_fmac_f32 v42, v32, v10
	v_fmac_f32_e32 v40, v34, v48
	v_fma_f32 v34, v34, v49, -v35
	v_mul_f32_e32 v10, v33, v10
	s_delay_alu instid0(VALU_DEP_4) | instskip(NEXT) | instid1(VALU_DEP_4)
	v_dual_mul_f32 v4, v31, v4 :: v_dual_sub_f32 v33, v29, v42
	v_sub_f32_e32 v43, v39, v40
	v_fma_f32 v28, v28, v15, -v14
	v_fma_f32 v13, 0xbf75a155, v38, -v13
	s_delay_alu instid0(VALU_DEP_4)
	v_fma_f32 v30, v30, v5, -v4
	v_add_f32_e32 v4, v41, v12
	v_dual_mul_f32 v12, 0xbf0a6770, v33 :: v_dual_mul_f32 v41, v17, v7
	v_dual_mul_f32 v14, 0x3f68dda4, v43 :: v_dual_add_f32 v31, v34, v28
	v_mul_f32_e32 v15, 0xbf7d64f0, v45
	v_add_f32_e32 v23, v23, v1
	s_delay_alu instid0(VALU_DEP_4) | instskip(NEXT) | instid1(VALU_DEP_4)
	v_fmac_f32_e32 v41, v16, v6
	v_dual_mul_f32 v6, v17, v6 :: v_dual_fmamk_f32 v5, v31, 0x3ed4b147, v14
	v_fma_f32 v32, v32, v11, -v10
	v_mul_f32_e32 v10, 0xbf4178ce, v3
	v_fma_f32 v14, 0x3ed4b147, v31, -v14
	s_delay_alu instid0(VALU_DEP_4) | instskip(NEXT) | instid1(VALU_DEP_4)
	v_fma_f32 v48, v16, v7, -v6
	v_dual_add_f32 v4, v5, v4 :: v_dual_add_f32 v35, v32, v30
	v_sub_f32_e32 v54, v30, v32
	v_dual_add_f32 v55, v42, v29 :: v_dual_mul_f32 v66, 0xbe903f40, v3
	v_mul_f32_e32 v61, 0xbf4178ce, v45
	s_delay_alu instid0(VALU_DEP_4) | instskip(NEXT) | instid1(VALU_DEP_4)
	v_fmamk_f32 v5, v35, 0x3f575c64, v12
	v_mul_f32_e32 v69, 0xbe903f40, v54
	v_dual_mul_f32 v56, 0xbf0a6770, v54 :: v_dual_add_f32 v27, v1, v27
	s_delay_alu instid0(VALU_DEP_3) | instskip(SKIP_3) | instid1(VALU_DEP_3)
	v_dual_mul_f32 v73, 0xbe903f40, v45 :: v_dual_add_f32 v4, v5, v4
	v_mul_f32_e32 v5, v19, v8
	v_dual_sub_f32 v19, v37, v26 :: v_dual_fmac_f32 v44, v18, v8
	v_dual_add_f32 v46, v20, v21 :: v_dual_add_f32 v49, v25, v24
	v_fma_f32 v18, v18, v9, -v5
	s_delay_alu instid0(VALU_DEP_3) | instskip(NEXT) | instid1(VALU_DEP_3)
	v_dual_mul_f32 v16, 0x3e903f40, v19 :: v_dual_sub_f32 v47, v41, v44
	v_fma_f32 v5, 0xbe11bafb, v46, -v15
	s_delay_alu instid0(VALU_DEP_3) | instskip(NEXT) | instid1(VALU_DEP_3)
	v_dual_sub_f32 v50, v28, v34 :: v_dual_add_f32 v51, v18, v48
	v_fma_f32 v6, 0xbf75a155, v49, -v16
	s_delay_alu instid0(VALU_DEP_4) | instskip(NEXT) | instid1(VALU_DEP_4)
	v_mul_f32_e32 v17, 0xbf4178ce, v47
	v_add_f32_e32 v5, v0, v5
	s_delay_alu instid0(VALU_DEP_4) | instskip(SKIP_1) | instid1(VALU_DEP_3)
	v_dual_add_f32 v52, v40, v39 :: v_dual_mul_f32 v53, 0x3f68dda4, v50
	v_dual_mul_f32 v11, 0x3f7d64f0, v2 :: v_dual_add_f32 v58, v44, v41
	v_dual_fmamk_f32 v7, v51, 0xbf27a4f4, v17 :: v_dual_add_f32 v6, v6, v5
	s_delay_alu instid0(VALU_DEP_3) | instskip(SKIP_2) | instid1(VALU_DEP_4)
	v_fma_f32 v8, 0x3ed4b147, v52, -v53
	v_sub_f32_e32 v57, v48, v18
	v_mul_f32_e32 v63, 0x3f7d64f0, v19
	v_add_f32_e32 v5, v7, v4
	v_fma_f32 v7, 0x3f575c64, v55, -v56
	v_add_f32_e32 v4, v8, v6
	v_fmamk_f32 v8, v38, 0xbe11bafb, v11
	v_mul_f32_e32 v59, 0xbf4178ce, v57
	v_dual_mul_f32 v60, 0xbf0a6770, v43 :: v_dual_mul_f32 v65, 0xbf0a6770, v50
	s_delay_alu instid0(VALU_DEP_4) | instskip(SKIP_1) | instid1(VALU_DEP_4)
	v_add_f32_e32 v4, v7, v4
	v_fma_f32 v9, 0xbe11bafb, v49, -v63
	v_fma_f32 v7, 0xbf27a4f4, v58, -v59
	v_mul_f32_e32 v78, 0xbf4178ce, v50
	v_fma_f32 v67, 0x3f575c64, v52, -v65
	v_mul_f32_e32 v76, 0xbf7d64f0, v47
	v_fma_f32 v11, 0xbe11bafb, v38, -v11
	v_add_f32_e32 v4, v7, v4
	v_fma_f32 v7, 0xbf27a4f4, v46, -v61
	v_mul_f32_e32 v62, 0xbe903f40, v33
	v_fma_f32 v79, 0xbf27a4f4, v52, -v78
	v_mul_f32_e32 v72, 0xbf4178ce, v43
	v_dual_fmac_f32 v78, 0xbf27a4f4, v52 :: v_dual_fmac_f32 v61, 0xbf27a4f4, v46
	v_add_f32_e32 v7, v0, v7
	v_fmamk_f32 v6, v36, 0xbf27a4f4, v10
	s_delay_alu instid0(VALU_DEP_4)
	v_fmamk_f32 v74, v31, 0xbf27a4f4, v72
	v_fma_f32 v10, 0xbf27a4f4, v36, -v10
	v_fmac_f32_e32 v65, 0x3f575c64, v52
	v_add_f32_e32 v9, v9, v7
	v_add_f32_e32 v6, v1, v6
	;; [unrolled: 1-line block ×4, first 2 shown]
	s_delay_alu instid0(VALU_DEP_4) | instskip(NEXT) | instid1(VALU_DEP_4)
	v_dual_fmac_f32 v56, 0x3f575c64, v55 :: v_dual_add_f32 v9, v67, v9
	v_add_f32_e32 v6, v8, v6
	v_fmamk_f32 v8, v31, 0x3f575c64, v60
	v_fma_f32 v67, 0xbf75a155, v55, -v69
	v_dual_mul_f32 v75, 0x3f68dda4, v33 :: v_dual_add_f32 v10, v11, v10
	v_fma_f32 v60, 0x3f575c64, v31, -v60
	s_delay_alu instid0(VALU_DEP_3) | instskip(SKIP_1) | instid1(VALU_DEP_3)
	v_dual_add_f32 v6, v8, v6 :: v_dual_add_f32 v9, v67, v9
	v_dual_fmamk_f32 v8, v35, 0xbf75a155, v62 :: v_dual_fmac_f32 v69, 0xbf75a155, v55
	v_add_f32_e32 v10, v60, v10
	v_fma_f32 v60, 0xbf75a155, v35, -v62
	s_delay_alu instid0(VALU_DEP_3) | instskip(SKIP_1) | instid1(VALU_DEP_3)
	v_dual_fmac_f32 v63, 0xbe11bafb, v49 :: v_dual_add_f32 v6, v8, v6
	v_dual_mul_f32 v64, 0x3f68dda4, v47 :: v_dual_add_f32 v61, v0, v61
	v_add_f32_e32 v60, v60, v10
	v_fmac_f32_e32 v15, 0xbe11bafb, v46
	v_fmac_f32_e32 v16, 0xbf75a155, v49
	s_delay_alu instid0(VALU_DEP_4)
	v_fmamk_f32 v8, v51, 0x3ed4b147, v64
	v_add_f32_e32 v61, v63, v61
	v_fmac_f32_e32 v53, 0x3ed4b147, v52
	v_add_f32_e32 v15, v0, v15
	v_mul_f32_e32 v63, 0x3f575c64, v51
	v_add_f32_e32 v7, v8, v6
	v_fmamk_f32 v6, v36, 0xbf75a155, v66
	v_mul_f32_e32 v8, 0x3f0a6770, v2
	v_fma_f32 v66, 0xbf75a155, v36, -v66
	v_fma_f32 v62, 0x3ed4b147, v51, -v64
	v_add_f32_e32 v61, v65, v61
	s_delay_alu instid0(VALU_DEP_4) | instskip(NEXT) | instid1(VALU_DEP_3)
	v_dual_add_f32 v6, v1, v6 :: v_dual_fmamk_f32 v71, v38, 0x3f575c64, v8
	v_dual_mul_f32 v70, 0x3f68dda4, v57 :: v_dual_add_f32 v13, v62, v60
	s_delay_alu instid0(VALU_DEP_3) | instskip(NEXT) | instid1(VALU_DEP_3)
	v_dual_add_f32 v60, v69, v61 :: v_dual_mul_f32 v61, 0x3ed4b147, v36
	v_add_f32_e32 v71, v71, v6
	s_delay_alu instid0(VALU_DEP_3)
	v_fma_f32 v67, 0x3ed4b147, v58, -v70
	v_fmac_f32_e32 v70, 0x3ed4b147, v58
	v_add_f32_e32 v14, v14, v27
	v_fma_f32 v27, 0x3f575c64, v35, -v12
	v_mul_f32_e32 v36, 0x3f575c64, v36
	v_dual_add_f32 v6, v67, v9 :: v_dual_mul_f32 v67, 0x3f0a6770, v19
	v_add_f32_e32 v66, v1, v66
	v_fma_f32 v8, 0x3f575c64, v38, -v8
	v_fma_f32 v9, 0xbf75a155, v46, -v73
	v_dual_add_f32 v12, v70, v60 :: v_dual_add_f32 v15, v16, v15
	v_fma_f32 v77, 0x3f575c64, v49, -v67
	s_delay_alu instid0(VALU_DEP_4) | instskip(SKIP_3) | instid1(VALU_DEP_3)
	v_dual_fmac_f32 v67, 0x3f575c64, v49 :: v_dual_add_f32 v8, v8, v66
	v_fmac_f32_e32 v73, 0xbf75a155, v46
	v_dual_add_f32 v9, v0, v9 :: v_dual_add_f32 v14, v27, v14
	v_fmamk_f32 v27, v3, 0x3f68dda4, v61
	v_dual_mul_f32 v60, 0xbf27a4f4, v38 :: v_dual_add_f32 v73, v0, v73
	v_dual_add_f32 v71, v74, v71 :: v_dual_mul_f32 v80, 0x3f68dda4, v54
	s_delay_alu instid0(VALU_DEP_4) | instskip(SKIP_1) | instid1(VALU_DEP_4)
	v_add_f32_e32 v77, v77, v9
	v_fma_f32 v16, 0xbf27a4f4, v51, -v17
	v_add_f32_e32 v67, v67, v73
	v_fmamk_f32 v74, v35, 0x3ed4b147, v75
	v_mul_f32_e32 v62, 0xbf75a155, v31
	v_add_f32_e32 v17, v1, v27
	v_fmac_f32_e32 v61, 0xbf68dda4, v3
	v_add_f32_e32 v67, v78, v67
	v_dual_add_f32 v71, v74, v71 :: v_dual_fmamk_f32 v74, v51, 0xbe11bafb, v76
	v_add_f32_e32 v53, v53, v15
	v_dual_add_f32 v15, v16, v14 :: v_dual_fmamk_f32 v16, v43, 0xbe903f40, v62
	v_fmamk_f32 v27, v2, 0x3f4178ce, v60
	s_delay_alu instid0(VALU_DEP_4)
	v_add_f32_e32 v9, v74, v71
	v_add_f32_e32 v71, v79, v77
	v_fma_f32 v74, 0x3ed4b147, v55, -v80
	v_mul_f32_e32 v77, 0xbf7d64f0, v57
	v_fma_f32 v66, 0xbf27a4f4, v31, -v72
	v_fmac_f32_e32 v80, 0x3ed4b147, v55
	s_delay_alu instid0(VALU_DEP_4) | instskip(NEXT) | instid1(VALU_DEP_4)
	v_dual_add_f32 v14, v27, v17 :: v_dual_add_f32 v71, v74, v71
	v_fma_f32 v72, 0xbe11bafb, v58, -v77
	s_delay_alu instid0(VALU_DEP_4)
	v_add_f32_e32 v66, v66, v8
	v_fma_f32 v74, 0x3ed4b147, v35, -v75
	v_fmac_f32_e32 v77, 0xbe11bafb, v58
	v_add_f32_e32 v17, v56, v53
	v_add_f32_e32 v16, v16, v14
	v_fmac_f32_e32 v59, 0xbf27a4f4, v58
	v_add_f32_e32 v66, v74, v66
	v_add_f32_e32 v8, v72, v71
	v_fma_f32 v71, 0xbe11bafb, v51, -v76
	s_delay_alu instid0(VALU_DEP_4) | instskip(SKIP_2) | instid1(VALU_DEP_4)
	v_dual_mul_f32 v27, 0xbe11bafb, v35 :: v_dual_add_f32 v14, v59, v17
	v_mul_f32_e32 v59, 0xbf4178ce, v19
	v_mul_f32_e32 v38, 0x3ed4b147, v38
	v_dual_add_f32 v11, v71, v66 :: v_dual_add_f32 v66, v80, v67
	s_delay_alu instid0(VALU_DEP_4) | instskip(NEXT) | instid1(VALU_DEP_4)
	v_fmamk_f32 v56, v33, 0xbf7d64f0, v27
	v_fmamk_f32 v65, v49, 0xbf27a4f4, v59
	v_mul_f32_e32 v53, 0xbf68dda4, v45
	s_delay_alu instid0(VALU_DEP_4) | instskip(NEXT) | instid1(VALU_DEP_4)
	v_dual_mul_f32 v45, 0xbf0a6770, v45 :: v_dual_add_f32 v10, v77, v66
	v_add_f32_e32 v16, v56, v16
	v_fmamk_f32 v56, v47, 0xbf0a6770, v63
	s_delay_alu instid0(VALU_DEP_4) | instskip(SKIP_3) | instid1(VALU_DEP_4)
	v_fmamk_f32 v17, v46, 0x3ed4b147, v53
	v_mul_f32_e32 v66, 0x3e903f40, v50
	v_mul_f32_e32 v69, 0x3f0a6770, v57
	v_add_f32_e32 v23, v37, v23
	v_dual_mul_f32 v35, 0xbf27a4f4, v35 :: v_dual_add_f32 v64, v0, v17
	v_dual_add_f32 v17, v56, v16 :: v_dual_fmamk_f32 v16, v3, 0x3f0a6770, v36
	s_delay_alu instid0(VALU_DEP_2) | instskip(NEXT) | instid1(VALU_DEP_3)
	v_dual_add_f32 v21, v0, v21 :: v_dual_fmamk_f32 v70, v33, 0x3f4178ce, v35
	v_dual_add_f32 v23, v28, v23 :: v_dual_add_f32 v56, v65, v64
	v_fmamk_f32 v64, v52, 0xbf75a155, v66
	s_delay_alu instid0(VALU_DEP_4) | instskip(SKIP_2) | instid1(VALU_DEP_4)
	v_dual_mul_f32 v65, 0x3f7d64f0, v54 :: v_dual_add_f32 v16, v1, v16
	v_mul_f32_e32 v31, 0xbe11bafb, v31
	v_add_f32_e32 v21, v24, v21
	v_add_f32_e32 v56, v64, v56
	s_delay_alu instid0(VALU_DEP_4) | instskip(SKIP_1) | instid1(VALU_DEP_4)
	v_fmamk_f32 v64, v55, 0xbe11bafb, v65
	v_fmamk_f32 v67, v2, 0x3f68dda4, v38
	v_dual_mul_f32 v28, 0xbf75a155, v51 :: v_dual_add_f32 v21, v39, v21
	s_delay_alu instid0(VALU_DEP_3) | instskip(NEXT) | instid1(VALU_DEP_3)
	v_dual_add_f32 v23, v30, v23 :: v_dual_add_f32 v56, v64, v56
	v_add_f32_e32 v16, v67, v16
	v_fmamk_f32 v64, v58, 0x3f575c64, v69
	v_fmamk_f32 v67, v43, 0x3f7d64f0, v31
	v_mul_f32_e32 v39, 0xbf7d64f0, v50
	v_dual_fmamk_f32 v50, v47, 0x3e903f40, v28 :: v_dual_add_f32 v23, v48, v23
	v_fmac_f32_e32 v35, 0xbf4178ce, v33
	s_delay_alu instid0(VALU_DEP_4) | instskip(SKIP_4) | instid1(VALU_DEP_3)
	v_add_f32_e32 v67, v67, v16
	v_add_f32_e32 v16, v64, v56
	v_fmamk_f32 v56, v46, 0x3f575c64, v45
	v_mul_f32_e32 v24, 0xbf68dda4, v19
	v_dual_add_f32 v18, v18, v23 :: v_dual_add_f32 v21, v29, v21
	v_dual_fmac_f32 v60, 0xbf4178ce, v2 :: v_dual_add_f32 v19, v0, v56
	s_delay_alu instid0(VALU_DEP_3) | instskip(NEXT) | instid1(VALU_DEP_3)
	v_dual_add_f32 v37, v70, v67 :: v_dual_fmamk_f32 v30, v49, 0x3ed4b147, v24
	v_add_f32_e32 v18, v32, v18
	v_fmac_f32_e32 v62, 0x3e903f40, v43
	v_fmac_f32_e32 v36, 0xbf0a6770, v3
	;; [unrolled: 1-line block ×3, first 2 shown]
	v_dual_add_f32 v29, v30, v19 :: v_dual_fmamk_f32 v30, v52, 0xbe11bafb, v39
	v_add_f32_e32 v19, v50, v37
	v_dual_add_f32 v18, v34, v18 :: v_dual_mul_f32 v37, 0xbe903f40, v57
	v_fma_f32 v3, 0x3f575c64, v46, -v45
	s_delay_alu instid0(VALU_DEP_4)
	v_add_f32_e32 v23, v30, v29
	v_mul_f32_e32 v29, 0xbf4178ce, v54
	v_add_f32_e32 v21, v41, v21
	v_add_f32_e32 v30, v1, v61
	v_dual_add_f32 v26, v26, v18 :: v_dual_add_f32 v1, v1, v36
	v_fmac_f32_e32 v28, 0xbe903f40, v47
	s_delay_alu instid0(VALU_DEP_4) | instskip(NEXT) | instid1(VALU_DEP_4)
	v_dual_fmamk_f32 v32, v55, 0xbf27a4f4, v29 :: v_dual_add_f32 v21, v44, v21
	v_add_f32_e32 v30, v60, v30
	v_fmac_f32_e32 v38, 0xbf68dda4, v2
	v_fmac_f32_e32 v63, 0x3f0a6770, v47
	s_delay_alu instid0(VALU_DEP_4) | instskip(SKIP_3) | instid1(VALU_DEP_4)
	v_dual_add_f32 v23, v32, v23 :: v_dual_fmamk_f32 v32, v58, 0xbf75a155, v37
	v_add_f32_e32 v21, v42, v21
	v_add_f32_e32 v30, v62, v30
	v_fma_f32 v2, 0x3ed4b147, v49, -v24
	v_add_f32_e32 v18, v32, v23
	s_delay_alu instid0(VALU_DEP_4) | instskip(SKIP_2) | instid1(VALU_DEP_3)
	v_dual_add_f32 v34, v40, v21 :: v_dual_add_f32 v21, v22, v26
	v_fma_f32 v23, 0x3ed4b147, v46, -v53
	v_fma_f32 v26, 0xbf27a4f4, v49, -v59
	v_add_f32_e32 v22, v25, v34
	v_add_f32_e32 v25, v27, v30
	s_delay_alu instid0(VALU_DEP_4) | instskip(SKIP_1) | instid1(VALU_DEP_4)
	v_add_f32_e32 v23, v0, v23
	v_dual_add_f32 v0, v0, v3 :: v_dual_add_f32 v1, v38, v1
	v_dual_add_f32 v20, v20, v22 :: v_dual_fmac_f32 v31, 0xbf7d64f0, v43
	v_add_nc_u32_e32 v22, 0x800, v86
	s_delay_alu instid0(VALU_DEP_3) | instskip(SKIP_1) | instid1(VALU_DEP_4)
	v_add_f32_e32 v0, v2, v0
	v_fma_f32 v2, 0xbe11bafb, v52, -v39
	v_add_f32_e32 v1, v31, v1
	v_add_f32_e32 v3, v26, v23
	v_fma_f32 v23, 0xbf75a155, v52, -v66
	s_delay_alu instid0(VALU_DEP_4)
	v_add_f32_e32 v0, v2, v0
	v_fma_f32 v2, 0xbf27a4f4, v55, -v29
	v_add_f32_e32 v24, v35, v1
	v_fma_f32 v26, 0xbf75a155, v58, -v37
	;; [unrolled: 2-line block ×3, first 2 shown]
	v_dual_add_f32 v2, v2, v0 :: v_dual_add_f32 v1, v63, v25
	v_add_nc_u32_e32 v25, 0x2000, v86
	s_delay_alu instid0(VALU_DEP_2) | instskip(SKIP_1) | instid1(VALU_DEP_1)
	v_dual_add_f32 v3, v23, v3 :: v_dual_add_f32 v2, v26, v2
	v_fma_f32 v23, 0x3f575c64, v58, -v69
	v_dual_add_f32 v0, v23, v3 :: v_dual_add_nc_u32 v23, 0x1000, v86
	v_dual_add_f32 v3, v28, v24 :: v_dual_add_nc_u32 v24, 0x1800, v86
	ds_store_2addr_b64 v86, v[20:21], v[18:19] offset1:136
	ds_store_2addr_b64 v22, v[16:17], v[14:15] offset0:16 offset1:152
	ds_store_2addr_b64 v23, v[12:13], v[10:11] offset0:32 offset1:168
	;; [unrolled: 1-line block ×4, first 2 shown]
	ds_store_b64 v86, v[2:3] offset:10880
.LBB0_21:
	s_wait_alu 0xfffe
	s_or_b32 exec_lo, exec_lo, s1
	global_wb scope:SCOPE_SE
	s_wait_dscnt 0x0
	s_barrier_signal -1
	s_barrier_wait -1
	global_inv scope:SCOPE_SE
	s_and_b32 exec_lo, exec_lo, vcc_lo
	s_cbranch_execz .LBB0_23
; %bb.22:
	global_load_b64 v[0:1], v86, s[12:13]
	ds_load_b64 v[2:3], v86
	v_mad_co_u64_u32 v[6:7], null, s4, v87, 0
	s_mov_b32 s0, 0xb8d015e7
	s_mov_b32 s1, 0x3f45e75b
	s_mul_u64 s[2:3], s[4:5], 0x2c0
	s_wait_loadcnt_dscnt 0x0
	v_mul_f32_e32 v4, v3, v1
	v_mul_f32_e32 v1, v2, v1
	s_delay_alu instid0(VALU_DEP_2) | instskip(NEXT) | instid1(VALU_DEP_2)
	v_fmac_f32_e32 v4, v2, v0
	v_fma_f32 v2, v0, v3, -v1
	s_delay_alu instid0(VALU_DEP_2) | instskip(NEXT) | instid1(VALU_DEP_2)
	v_cvt_f64_f32_e32 v[0:1], v4
	v_cvt_f64_f32_e32 v[2:3], v2
	v_mad_co_u64_u32 v[4:5], null, s6, v68, 0
	s_wait_alu 0xfffe
	s_delay_alu instid0(VALU_DEP_3) | instskip(NEXT) | instid1(VALU_DEP_3)
	v_mul_f64_e32 v[0:1], s[0:1], v[0:1]
	v_mul_f64_e32 v[2:3], s[0:1], v[2:3]
	s_delay_alu instid0(VALU_DEP_2) | instskip(NEXT) | instid1(VALU_DEP_2)
	v_cvt_f32_f64_e32 v0, v[0:1]
	v_cvt_f32_f64_e32 v1, v[2:3]
	v_dual_mov_b32 v3, v7 :: v_dual_mov_b32 v2, v5
	s_delay_alu instid0(VALU_DEP_1) | instskip(SKIP_1) | instid1(VALU_DEP_2)
	v_mad_co_u64_u32 v[7:8], null, s7, v68, v[2:3]
	v_mad_co_u64_u32 v[2:3], null, s5, v87, v[3:4]
	v_mov_b32_e32 v5, v7
	s_delay_alu instid0(VALU_DEP_2) | instskip(NEXT) | instid1(VALU_DEP_2)
	v_mov_b32_e32 v7, v2
	v_lshlrev_b64_e32 v[2:3], 3, v[4:5]
	s_delay_alu instid0(VALU_DEP_2) | instskip(NEXT) | instid1(VALU_DEP_2)
	v_lshlrev_b64_e32 v[4:5], 3, v[6:7]
	v_add_co_u32 v8, vcc_lo, s14, v2
	s_delay_alu instid0(VALU_DEP_3) | instskip(NEXT) | instid1(VALU_DEP_2)
	v_add_co_ci_u32_e32 v9, vcc_lo, s15, v3, vcc_lo
	v_add_co_u32 v4, vcc_lo, v8, v4
	s_wait_alu 0xfffd
	s_delay_alu instid0(VALU_DEP_2)
	v_add_co_ci_u32_e32 v5, vcc_lo, v9, v5, vcc_lo
	global_store_b64 v[4:5], v[0:1], off
	global_load_b64 v[6:7], v86, s[12:13] offset:704
	ds_load_2addr_b64 v[0:3], v86 offset0:88 offset1:176
	v_add_co_u32 v4, vcc_lo, v4, s2
	s_wait_alu 0xfffd
	v_add_co_ci_u32_e32 v5, vcc_lo, s3, v5, vcc_lo
	s_wait_loadcnt_dscnt 0x0
	v_mul_f32_e32 v10, v1, v7
	v_mul_f32_e32 v7, v0, v7
	s_delay_alu instid0(VALU_DEP_2) | instskip(NEXT) | instid1(VALU_DEP_2)
	v_fmac_f32_e32 v10, v0, v6
	v_fma_f32 v6, v6, v1, -v7
	s_delay_alu instid0(VALU_DEP_2) | instskip(NEXT) | instid1(VALU_DEP_2)
	v_cvt_f64_f32_e32 v[0:1], v10
	v_cvt_f64_f32_e32 v[6:7], v6
	s_delay_alu instid0(VALU_DEP_2) | instskip(NEXT) | instid1(VALU_DEP_2)
	v_mul_f64_e32 v[0:1], s[0:1], v[0:1]
	v_mul_f64_e32 v[6:7], s[0:1], v[6:7]
	s_delay_alu instid0(VALU_DEP_2) | instskip(NEXT) | instid1(VALU_DEP_2)
	v_cvt_f32_f64_e32 v0, v[0:1]
	v_cvt_f32_f64_e32 v1, v[6:7]
	global_store_b64 v[4:5], v[0:1], off
	global_load_b64 v[0:1], v86, s[12:13] offset:1408
	v_add_co_u32 v4, vcc_lo, v4, s2
	s_wait_alu 0xfffd
	v_add_co_ci_u32_e32 v5, vcc_lo, s3, v5, vcc_lo
	s_wait_loadcnt 0x0
	v_mul_f32_e32 v6, v3, v1
	v_mul_f32_e32 v1, v2, v1
	s_delay_alu instid0(VALU_DEP_2) | instskip(NEXT) | instid1(VALU_DEP_2)
	v_fmac_f32_e32 v6, v2, v0
	v_fma_f32 v2, v0, v3, -v1
	s_delay_alu instid0(VALU_DEP_2) | instskip(NEXT) | instid1(VALU_DEP_2)
	v_cvt_f64_f32_e32 v[0:1], v6
	v_cvt_f64_f32_e32 v[2:3], v2
	s_delay_alu instid0(VALU_DEP_2) | instskip(NEXT) | instid1(VALU_DEP_2)
	v_mul_f64_e32 v[0:1], s[0:1], v[0:1]
	v_mul_f64_e32 v[2:3], s[0:1], v[2:3]
	s_delay_alu instid0(VALU_DEP_2) | instskip(NEXT) | instid1(VALU_DEP_2)
	v_cvt_f32_f64_e32 v0, v[0:1]
	v_cvt_f32_f64_e32 v1, v[2:3]
	global_store_b64 v[4:5], v[0:1], off
	global_load_b64 v[6:7], v86, s[12:13] offset:2112
	v_add_nc_u32_e32 v0, 0x800, v86
	v_add_co_u32 v4, vcc_lo, v4, s2
	s_wait_alu 0xfffd
	v_add_co_ci_u32_e32 v5, vcc_lo, s3, v5, vcc_lo
	ds_load_2addr_b64 v[0:3], v0 offset0:8 offset1:96
	s_wait_loadcnt_dscnt 0x0
	v_mul_f32_e32 v10, v1, v7
	v_mul_f32_e32 v7, v0, v7
	s_delay_alu instid0(VALU_DEP_2) | instskip(NEXT) | instid1(VALU_DEP_2)
	v_fmac_f32_e32 v10, v0, v6
	v_fma_f32 v6, v6, v1, -v7
	s_delay_alu instid0(VALU_DEP_2) | instskip(NEXT) | instid1(VALU_DEP_2)
	v_cvt_f64_f32_e32 v[0:1], v10
	v_cvt_f64_f32_e32 v[6:7], v6
	s_delay_alu instid0(VALU_DEP_2) | instskip(NEXT) | instid1(VALU_DEP_2)
	v_mul_f64_e32 v[0:1], s[0:1], v[0:1]
	v_mul_f64_e32 v[6:7], s[0:1], v[6:7]
	s_delay_alu instid0(VALU_DEP_2) | instskip(NEXT) | instid1(VALU_DEP_2)
	v_cvt_f32_f64_e32 v0, v[0:1]
	v_cvt_f32_f64_e32 v1, v[6:7]
	global_store_b64 v[4:5], v[0:1], off
	global_load_b64 v[0:1], v86, s[12:13] offset:2816
	v_add_co_u32 v4, vcc_lo, v4, s2
	s_wait_alu 0xfffd
	v_add_co_ci_u32_e32 v5, vcc_lo, s3, v5, vcc_lo
	s_wait_loadcnt 0x0
	v_mul_f32_e32 v6, v3, v1
	v_mul_f32_e32 v1, v2, v1
	s_delay_alu instid0(VALU_DEP_2) | instskip(NEXT) | instid1(VALU_DEP_2)
	v_fmac_f32_e32 v6, v2, v0
	v_fma_f32 v2, v0, v3, -v1
	s_delay_alu instid0(VALU_DEP_2) | instskip(NEXT) | instid1(VALU_DEP_2)
	v_cvt_f64_f32_e32 v[0:1], v6
	v_cvt_f64_f32_e32 v[2:3], v2
	s_delay_alu instid0(VALU_DEP_2) | instskip(NEXT) | instid1(VALU_DEP_2)
	v_mul_f64_e32 v[0:1], s[0:1], v[0:1]
	v_mul_f64_e32 v[2:3], s[0:1], v[2:3]
	s_delay_alu instid0(VALU_DEP_2) | instskip(NEXT) | instid1(VALU_DEP_2)
	v_cvt_f32_f64_e32 v0, v[0:1]
	v_cvt_f32_f64_e32 v1, v[2:3]
	global_store_b64 v[4:5], v[0:1], off
	global_load_b64 v[6:7], v86, s[12:13] offset:3520
	v_add_nc_u32_e32 v0, 0xc00, v86
	v_add_co_u32 v4, vcc_lo, v4, s2
	s_wait_alu 0xfffd
	v_add_co_ci_u32_e32 v5, vcc_lo, s3, v5, vcc_lo
	ds_load_2addr_b64 v[0:3], v0 offset0:56 offset1:144
	;; [unrolled: 42-line block ×7, first 2 shown]
	s_wait_loadcnt_dscnt 0x0
	v_mul_f32_e32 v10, v1, v7
	v_mul_f32_e32 v7, v0, v7
	s_delay_alu instid0(VALU_DEP_2) | instskip(NEXT) | instid1(VALU_DEP_2)
	v_fmac_f32_e32 v10, v0, v6
	v_fma_f32 v6, v6, v1, -v7
	s_delay_alu instid0(VALU_DEP_2) | instskip(NEXT) | instid1(VALU_DEP_2)
	v_cvt_f64_f32_e32 v[0:1], v10
	v_cvt_f64_f32_e32 v[6:7], v6
	s_delay_alu instid0(VALU_DEP_2) | instskip(NEXT) | instid1(VALU_DEP_2)
	v_mul_f64_e32 v[0:1], s[0:1], v[0:1]
	v_mul_f64_e32 v[6:7], s[0:1], v[6:7]
	s_delay_alu instid0(VALU_DEP_2) | instskip(NEXT) | instid1(VALU_DEP_2)
	v_cvt_f32_f64_e32 v0, v[0:1]
	v_cvt_f32_f64_e32 v1, v[6:7]
	global_store_b64 v[4:5], v[0:1], off
	global_load_b64 v[0:1], v86, s[12:13] offset:11264
	s_wait_loadcnt 0x0
	v_mul_f32_e32 v4, v3, v1
	v_mul_f32_e32 v1, v2, v1
	s_delay_alu instid0(VALU_DEP_2) | instskip(NEXT) | instid1(VALU_DEP_2)
	v_fmac_f32_e32 v4, v2, v0
	v_fma_f32 v2, v0, v3, -v1
	s_delay_alu instid0(VALU_DEP_2) | instskip(NEXT) | instid1(VALU_DEP_2)
	v_cvt_f64_f32_e32 v[0:1], v4
	v_cvt_f64_f32_e32 v[2:3], v2
	v_mad_co_u64_u32 v[4:5], null, s4, v85, 0
	s_delay_alu instid0(VALU_DEP_3) | instskip(NEXT) | instid1(VALU_DEP_3)
	v_mul_f64_e32 v[0:1], s[0:1], v[0:1]
	v_mul_f64_e32 v[2:3], s[0:1], v[2:3]
	s_delay_alu instid0(VALU_DEP_2) | instskip(NEXT) | instid1(VALU_DEP_2)
	v_cvt_f32_f64_e32 v0, v[0:1]
	v_cvt_f32_f64_e32 v1, v[2:3]
	v_mov_b32_e32 v2, v5
	s_delay_alu instid0(VALU_DEP_1) | instskip(NEXT) | instid1(VALU_DEP_1)
	v_mad_co_u64_u32 v[2:3], null, s5, v85, v[2:3]
	v_mov_b32_e32 v5, v2
	s_delay_alu instid0(VALU_DEP_1) | instskip(NEXT) | instid1(VALU_DEP_1)
	v_lshlrev_b64_e32 v[2:3], 3, v[4:5]
	v_add_co_u32 v2, vcc_lo, v8, v2
	s_wait_alu 0xfffd
	s_delay_alu instid0(VALU_DEP_2)
	v_add_co_ci_u32_e32 v3, vcc_lo, v9, v3, vcc_lo
	global_store_b64 v[2:3], v[0:1], off
.LBB0_23:
	s_nop 0
	s_sendmsg sendmsg(MSG_DEALLOC_VGPRS)
	s_endpgm
	.section	.rodata,"a",@progbits
	.p2align	6, 0x0
	.amdhsa_kernel bluestein_single_fwd_len1496_dim1_sp_op_CI_CI
		.amdhsa_group_segment_fixed_size 11968
		.amdhsa_private_segment_fixed_size 0
		.amdhsa_kernarg_size 104
		.amdhsa_user_sgpr_count 2
		.amdhsa_user_sgpr_dispatch_ptr 0
		.amdhsa_user_sgpr_queue_ptr 0
		.amdhsa_user_sgpr_kernarg_segment_ptr 1
		.amdhsa_user_sgpr_dispatch_id 0
		.amdhsa_user_sgpr_private_segment_size 0
		.amdhsa_wavefront_size32 1
		.amdhsa_uses_dynamic_stack 0
		.amdhsa_enable_private_segment 0
		.amdhsa_system_sgpr_workgroup_id_x 1
		.amdhsa_system_sgpr_workgroup_id_y 0
		.amdhsa_system_sgpr_workgroup_id_z 0
		.amdhsa_system_sgpr_workgroup_info 0
		.amdhsa_system_vgpr_workitem_id 0
		.amdhsa_next_free_vgpr 215
		.amdhsa_next_free_sgpr 16
		.amdhsa_reserve_vcc 1
		.amdhsa_float_round_mode_32 0
		.amdhsa_float_round_mode_16_64 0
		.amdhsa_float_denorm_mode_32 3
		.amdhsa_float_denorm_mode_16_64 3
		.amdhsa_fp16_overflow 0
		.amdhsa_workgroup_processor_mode 1
		.amdhsa_memory_ordered 1
		.amdhsa_forward_progress 0
		.amdhsa_round_robin_scheduling 0
		.amdhsa_exception_fp_ieee_invalid_op 0
		.amdhsa_exception_fp_denorm_src 0
		.amdhsa_exception_fp_ieee_div_zero 0
		.amdhsa_exception_fp_ieee_overflow 0
		.amdhsa_exception_fp_ieee_underflow 0
		.amdhsa_exception_fp_ieee_inexact 0
		.amdhsa_exception_int_div_zero 0
	.end_amdhsa_kernel
	.text
.Lfunc_end0:
	.size	bluestein_single_fwd_len1496_dim1_sp_op_CI_CI, .Lfunc_end0-bluestein_single_fwd_len1496_dim1_sp_op_CI_CI
                                        ; -- End function
	.section	.AMDGPU.csdata,"",@progbits
; Kernel info:
; codeLenInByte = 22140
; NumSgprs: 18
; NumVgprs: 215
; ScratchSize: 0
; MemoryBound: 0
; FloatMode: 240
; IeeeMode: 1
; LDSByteSize: 11968 bytes/workgroup (compile time only)
; SGPRBlocks: 2
; VGPRBlocks: 26
; NumSGPRsForWavesPerEU: 18
; NumVGPRsForWavesPerEU: 215
; Occupancy: 7
; WaveLimiterHint : 1
; COMPUTE_PGM_RSRC2:SCRATCH_EN: 0
; COMPUTE_PGM_RSRC2:USER_SGPR: 2
; COMPUTE_PGM_RSRC2:TRAP_HANDLER: 0
; COMPUTE_PGM_RSRC2:TGID_X_EN: 1
; COMPUTE_PGM_RSRC2:TGID_Y_EN: 0
; COMPUTE_PGM_RSRC2:TGID_Z_EN: 0
; COMPUTE_PGM_RSRC2:TIDIG_COMP_CNT: 0
	.text
	.p2alignl 7, 3214868480
	.fill 96, 4, 3214868480
	.type	__hip_cuid_1705ccbe9279bfbc,@object ; @__hip_cuid_1705ccbe9279bfbc
	.section	.bss,"aw",@nobits
	.globl	__hip_cuid_1705ccbe9279bfbc
__hip_cuid_1705ccbe9279bfbc:
	.byte	0                               ; 0x0
	.size	__hip_cuid_1705ccbe9279bfbc, 1

	.ident	"AMD clang version 19.0.0git (https://github.com/RadeonOpenCompute/llvm-project roc-6.4.0 25133 c7fe45cf4b819c5991fe208aaa96edf142730f1d)"
	.section	".note.GNU-stack","",@progbits
	.addrsig
	.addrsig_sym __hip_cuid_1705ccbe9279bfbc
	.amdgpu_metadata
---
amdhsa.kernels:
  - .args:
      - .actual_access:  read_only
        .address_space:  global
        .offset:         0
        .size:           8
        .value_kind:     global_buffer
      - .actual_access:  read_only
        .address_space:  global
        .offset:         8
        .size:           8
        .value_kind:     global_buffer
      - .actual_access:  read_only
        .address_space:  global
        .offset:         16
        .size:           8
        .value_kind:     global_buffer
      - .actual_access:  read_only
        .address_space:  global
        .offset:         24
        .size:           8
        .value_kind:     global_buffer
      - .actual_access:  read_only
        .address_space:  global
        .offset:         32
        .size:           8
        .value_kind:     global_buffer
      - .offset:         40
        .size:           8
        .value_kind:     by_value
      - .address_space:  global
        .offset:         48
        .size:           8
        .value_kind:     global_buffer
      - .address_space:  global
        .offset:         56
        .size:           8
        .value_kind:     global_buffer
      - .address_space:  global
        .offset:         64
        .size:           8
        .value_kind:     global_buffer
      - .address_space:  global
        .offset:         72
        .size:           8
        .value_kind:     global_buffer
      - .offset:         80
        .size:           4
        .value_kind:     by_value
      - .address_space:  global
        .offset:         88
        .size:           8
        .value_kind:     global_buffer
      - .address_space:  global
        .offset:         96
        .size:           8
        .value_kind:     global_buffer
    .group_segment_fixed_size: 11968
    .kernarg_segment_align: 8
    .kernarg_segment_size: 104
    .language:       OpenCL C
    .language_version:
      - 2
      - 0
    .max_flat_workgroup_size: 187
    .name:           bluestein_single_fwd_len1496_dim1_sp_op_CI_CI
    .private_segment_fixed_size: 0
    .sgpr_count:     18
    .sgpr_spill_count: 0
    .symbol:         bluestein_single_fwd_len1496_dim1_sp_op_CI_CI.kd
    .uniform_work_group_size: 1
    .uses_dynamic_stack: false
    .vgpr_count:     215
    .vgpr_spill_count: 0
    .wavefront_size: 32
    .workgroup_processor_mode: 1
amdhsa.target:   amdgcn-amd-amdhsa--gfx1201
amdhsa.version:
  - 1
  - 2
...

	.end_amdgpu_metadata
